;; amdgpu-corpus repo=ROCm/rocSPARSE kind=compiled arch=gfx906 opt=O3
	.amdgcn_target "amdgcn-amd-amdhsa--gfx906"
	.amdhsa_code_object_version 6
	.section	.text._ZN9rocsparseL17csrilu0_binsearchILj256ELj64ELb1EfEEviPKiS2_PT2_S2_PiS2_S5_S5_d21rocsparse_index_base_imNS_24const_host_device_scalarIfEENS7_IdEENS7_IS3_EEb,"axG",@progbits,_ZN9rocsparseL17csrilu0_binsearchILj256ELj64ELb1EfEEviPKiS2_PT2_S2_PiS2_S5_S5_d21rocsparse_index_base_imNS_24const_host_device_scalarIfEENS7_IdEENS7_IS3_EEb,comdat
	.globl	_ZN9rocsparseL17csrilu0_binsearchILj256ELj64ELb1EfEEviPKiS2_PT2_S2_PiS2_S5_S5_d21rocsparse_index_base_imNS_24const_host_device_scalarIfEENS7_IdEENS7_IS3_EEb ; -- Begin function _ZN9rocsparseL17csrilu0_binsearchILj256ELj64ELb1EfEEviPKiS2_PT2_S2_PiS2_S5_S5_d21rocsparse_index_base_imNS_24const_host_device_scalarIfEENS7_IdEENS7_IS3_EEb
	.p2align	8
	.type	_ZN9rocsparseL17csrilu0_binsearchILj256ELj64ELb1EfEEviPKiS2_PT2_S2_PiS2_S5_S5_d21rocsparse_index_base_imNS_24const_host_device_scalarIfEENS7_IdEENS7_IS3_EEb,@function
_ZN9rocsparseL17csrilu0_binsearchILj256ELj64ELb1EfEEviPKiS2_PT2_S2_PiS2_S5_S5_d21rocsparse_index_base_imNS_24const_host_device_scalarIfEENS7_IdEENS7_IS3_EEb: ; @_ZN9rocsparseL17csrilu0_binsearchILj256ELj64ELb1EfEEviPKiS2_PT2_S2_PiS2_S5_S5_d21rocsparse_index_base_imNS_24const_host_device_scalarIfEENS7_IdEENS7_IS3_EEb
; %bb.0:
	s_load_dword s0, s[4:5], 0x78
	s_load_dwordx2 s[2:3], s[4:5], 0x50
	s_load_dwordx8 s[24:31], s[4:5], 0x58
	s_waitcnt lgkmcnt(0)
	s_bitcmp1_b32 s0, 0
	s_cselect_b64 s[0:1], -1, 0
	s_cmp_eq_u32 s3, 0
	s_cselect_b64 s[8:9], -1, 0
	s_cmp_lg_u32 s3, 0
	s_cselect_b64 s[34:35], -1, 0
	s_or_b64 s[0:1], s[8:9], s[0:1]
	s_xor_b64 s[10:11], s[0:1], -1
	s_and_b64 s[12:13], s[8:9], exec
	s_cselect_b32 s13, 0, s29
	s_cselect_b32 s12, 0, s28
	s_and_b64 vcc, exec, s[0:1]
	s_cbranch_vccnz .LBB0_2
; %bb.1:
	s_load_dword s0, s[26:27], 0x0
	s_mov_b64 s[12:13], s[28:29]
	s_waitcnt lgkmcnt(0)
	v_mov_b32_e32 v15, s0
	s_branch .LBB0_3
.LBB0_2:
	v_mov_b32_e32 v1, s26
	v_cndmask_b32_e64 v15, v1, 0, s[8:9]
.LBB0_3:
	v_cndmask_b32_e64 v1, 0, 1, s[10:11]
	v_mov_b32_e32 v3, s12
	v_cmp_ne_u32_e64 s[0:1], 1, v1
	s_andn2_b64 vcc, exec, s[10:11]
	v_mov_b32_e32 v4, s13
	s_cbranch_vccnz .LBB0_5
; %bb.4:
	v_mov_b32_e32 v1, s28
	v_mov_b32_e32 v2, s29
	flat_load_dwordx2 v[3:4], v[1:2]
.LBB0_5:
	s_and_b64 vcc, exec, s[0:1]
	s_cbranch_vccnz .LBB0_7
; %bb.6:
	s_load_dword s0, s[30:31], 0x0
	s_waitcnt lgkmcnt(0)
	v_mov_b32_e32 v16, s0
	s_branch .LBB0_8
.LBB0_7:
	v_mov_b32_e32 v1, s30
	v_cndmask_b32_e64 v16, v1, 0, s[8:9]
.LBB0_8:
	s_load_dword s0, s[4:5], 0x0
	s_lshl_b32 s1, s6, 2
	v_lshrrev_b32_e32 v1, 6, v0
	s_and_b32 s1, s1, 0x3fffffc
	v_or_b32_e32 v1, s1, v1
	s_waitcnt lgkmcnt(0)
	v_cmp_gt_i32_e32 vcc, s0, v1
	s_and_saveexec_b64 s[0:1], vcc
	s_cbranch_execz .LBB0_46
; %bb.9:
	s_load_dwordx16 s[8:23], s[4:5], 0x8
	v_lshlrev_b32_e32 v1, 2, v1
	v_and_b32_e32 v0, 63, v0
	s_waitcnt lgkmcnt(0)
	global_load_dword v5, v1, s[18:19]
	v_mov_b32_e32 v7, s15
	v_mov_b32_e32 v9, s9
	s_waitcnt vmcnt(0)
	v_ashrrev_i32_e32 v6, 31, v5
	v_lshlrev_b64 v[1:2], 2, v[5:6]
	v_add_co_u32_e32 v10, vcc, s14, v1
	v_addc_co_u32_e32 v11, vcc, v7, v2, vcc
	v_add_co_u32_e32 v8, vcc, s8, v1
	v_addc_co_u32_e32 v9, vcc, v9, v2, vcc
	global_load_dword v7, v[8:9], off
	global_load_dword v6, v[10:11], off
	s_waitcnt vmcnt(1)
	v_subrev_u32_e32 v7, s2, v7
	s_waitcnt vmcnt(0)
	v_cmp_lt_i32_e32 vcc, v7, v6
	s_and_saveexec_b64 s[0:1], vcc
	s_cbranch_execz .LBB0_28
; %bb.10:
	global_load_dword v8, v[8:9], off offset:4
	v_add_u32_e32 v17, 1, v0
	s_mov_b64 s[6:7], 0
	v_mov_b32_e32 v18, s11
	v_mov_b32_e32 v19, s13
	;; [unrolled: 1-line block ×5, first 2 shown]
	s_waitcnt vmcnt(0)
	v_xad_u32 v22, s2, -1, v8
	s_branch .LBB0_13
.LBB0_11:                               ;   in Loop: Header=BB0_13 Depth=1
	s_or_b64 exec, exec, s[26:27]
	v_cmp_ge_i32_e32 vcc, v7, v6
	s_orn2_b64 s[26:27], vcc, exec
.LBB0_12:                               ;   in Loop: Header=BB0_13 Depth=1
	s_or_b64 exec, exec, s[18:19]
	s_and_b64 s[18:19], exec, s[26:27]
	s_or_b64 s[6:7], s[18:19], s[6:7]
	s_andn2_b64 exec, exec, s[6:7]
	s_cbranch_execz .LBB0_28
.LBB0_13:                               ; =>This Loop Header: Depth=1
                                        ;     Child Loop BB0_16 Depth 2
                                        ;       Child Loop BB0_17 Depth 3
                                        ;     Child Loop BB0_22 Depth 2
                                        ;       Child Loop BB0_24 Depth 3
	v_ashrrev_i32_e32 v8, 31, v7
	v_lshlrev_b64 v[9:10], 2, v[7:8]
	v_add_co_u32_e32 v11, vcc, s10, v9
	v_addc_co_u32_e32 v12, vcc, v18, v10, vcc
	global_load_dword v8, v[11:12], off
	v_add_co_u32_e32 v9, vcc, s12, v9
	v_addc_co_u32_e32 v10, vcc, v19, v10, vcc
	global_load_dword v13, v[9:10], off
	s_waitcnt vmcnt(1)
	v_subrev_u32_e32 v11, s2, v8
	v_ashrrev_i32_e32 v12, 31, v11
	v_lshlrev_b64 v[11:12], 2, v[11:12]
	v_add_co_u32_e32 v24, vcc, s8, v11
	v_addc_co_u32_e32 v25, vcc, v20, v12, vcc
	v_add_co_u32_e32 v26, vcc, s14, v11
	v_addc_co_u32_e32 v27, vcc, v21, v12, vcc
	;; [unrolled: 2-line block ×3, first 2 shown]
	global_load_dword v14, v[24:25], off offset:4
	global_load_dword v8, v[26:27], off
	global_load_dword v28, v[11:12], off glc
	s_waitcnt vmcnt(0)
	v_cmp_eq_u32_e32 vcc, 0, v28
	s_and_saveexec_b64 s[18:19], vcc
	s_cbranch_execz .LBB0_18
; %bb.14:                               ;   in Loop: Header=BB0_13 Depth=1
	s_mov_b32 s3, 0
	s_mov_b64 s[26:27], 0
	s_branch .LBB0_16
.LBB0_15:                               ;   in Loop: Header=BB0_16 Depth=2
	global_load_dword v24, v[11:12], off glc
	s_cmpk_lt_u32 s3, 0xf43
	s_cselect_b64 s[28:29], -1, 0
	s_cmp_lg_u64 s[28:29], 0
	s_addc_u32 s3, s3, 0
	s_waitcnt vmcnt(0)
	v_cmp_ne_u32_e32 vcc, 0, v24
	s_or_b64 s[26:27], vcc, s[26:27]
	s_andn2_b64 exec, exec, s[26:27]
	s_cbranch_execz .LBB0_18
.LBB0_16:                               ;   Parent Loop BB0_13 Depth=1
                                        ; =>  This Loop Header: Depth=2
                                        ;       Child Loop BB0_17 Depth 3
	s_cmp_eq_u32 s3, 0
	s_mov_b32 s9, s3
	s_cbranch_scc1 .LBB0_15
.LBB0_17:                               ;   Parent Loop BB0_13 Depth=1
                                        ;     Parent Loop BB0_16 Depth=2
                                        ; =>    This Inner Loop Header: Depth=3
	s_add_i32 s9, s9, -1
	s_cmp_eq_u32 s9, 0
	s_sleep 1
	s_cbranch_scc0 .LBB0_17
	s_branch .LBB0_15
.LBB0_18:                               ;   in Loop: Header=BB0_13 Depth=1
	s_or_b64 exec, exec, s[18:19]
	v_subrev_u32_e32 v24, s2, v14
	v_add_u32_e32 v11, -1, v24
	v_cmp_eq_u32_e32 vcc, -1, v8
	v_cndmask_b32_e32 v11, v8, v11, vcc
	v_ashrrev_i32_e32 v12, 31, v11
	v_lshlrev_b64 v[25:26], 2, v[11:12]
	v_mov_b32_e32 v8, s13
	v_add_co_u32_e32 v25, vcc, s12, v25
	v_addc_co_u32_e32 v26, vcc, v8, v26, vcc
	buffer_wbinvl1_vol
	global_load_dword v12, v[25:26], off
	s_mov_b64 s[26:27], -1
	s_waitcnt vmcnt(0)
	v_cmp_neq_f32_e32 vcc, 0, v12
	s_and_saveexec_b64 s[18:19], vcc
	s_xor_b64 s[18:19], exec, s[18:19]
	s_cbranch_execz .LBB0_12
; %bb.19:                               ;   in Loop: Header=BB0_13 Depth=1
	v_div_scale_f32 v8, s[26:27], v12, v12, v13
	v_div_scale_f32 v14, vcc, v13, v12, v13
	v_add_u32_e32 v7, 1, v7
	v_rcp_f32_e32 v25, v8
	v_fma_f32 v26, -v8, v25, 1.0
	v_fmac_f32_e32 v25, v26, v25
	v_mul_f32_e32 v26, v14, v25
	v_fma_f32 v27, -v8, v26, v14
	v_fmac_f32_e32 v26, v27, v25
	v_fma_f32 v8, -v8, v26, v14
	v_div_fmas_f32 v14, v8, v25, v26
	v_add_u32_e32 v8, v17, v11
	v_cmp_lt_i32_e32 vcc, v8, v24
	v_div_fixup_f32 v25, v14, v12, v13
	global_store_dword v[9:10], v25, off
	s_and_saveexec_b64 s[26:27], vcc
	s_cbranch_execz .LBB0_11
; %bb.20:                               ;   in Loop: Header=BB0_13 Depth=1
	s_mov_b64 s[28:29], 0
	v_mov_b32_e32 v10, v7
	s_branch .LBB0_22
.LBB0_21:                               ;   in Loop: Header=BB0_22 Depth=2
	s_or_b64 exec, exec, s[30:31]
	v_add_u32_e32 v8, 64, v8
	v_cmp_ge_i32_e32 vcc, v8, v24
	s_or_b64 s[28:29], vcc, s[28:29]
	s_andn2_b64 exec, exec, s[28:29]
	s_cbranch_execz .LBB0_11
.LBB0_22:                               ;   Parent Loop BB0_13 Depth=1
                                        ; =>  This Loop Header: Depth=2
                                        ;       Child Loop BB0_24 Depth 3
	v_add_u32_e32 v13, v10, v22
	v_ashrrev_i32_e32 v9, 31, v8
	v_lshlrev_b64 v[11:12], 2, v[8:9]
	v_ashrrev_i32_e32 v13, 1, v13
	v_ashrrev_i32_e32 v14, 31, v13
	v_mov_b32_e32 v9, s11
	v_add_co_u32_e32 v26, vcc, s10, v11
	v_lshlrev_b64 v[28:29], 2, v[13:14]
	v_addc_co_u32_e32 v27, vcc, v9, v12, vcc
	v_add_co_u32_e32 v28, vcc, s10, v28
	v_addc_co_u32_e32 v29, vcc, v9, v29, vcc
	global_load_dword v9, v[26:27], off
	global_load_dword v14, v[28:29], off
	v_cmp_lt_i32_e32 vcc, v10, v22
	s_and_saveexec_b64 s[30:31], vcc
	s_cbranch_execz .LBB0_26
; %bb.23:                               ;   in Loop: Header=BB0_22 Depth=2
	s_mov_b64 s[36:37], 0
	v_mov_b32_e32 v26, v22
.LBB0_24:                               ;   Parent Loop BB0_13 Depth=1
                                        ;     Parent Loop BB0_22 Depth=2
                                        ; =>    This Inner Loop Header: Depth=3
	v_add_u32_e32 v27, 1, v13
	s_waitcnt vmcnt(0)
	v_cmp_lt_i32_e32 vcc, v14, v9
	v_cndmask_b32_e32 v26, v13, v26, vcc
	v_cndmask_b32_e32 v10, v10, v27, vcc
	v_add_u32_e32 v13, v26, v10
	v_ashrrev_i32_e32 v13, 1, v13
	v_ashrrev_i32_e32 v14, 31, v13
	v_lshlrev_b64 v[27:28], 2, v[13:14]
	v_mov_b32_e32 v14, s11
	v_add_co_u32_e32 v27, vcc, s10, v27
	v_addc_co_u32_e32 v28, vcc, v14, v28, vcc
	global_load_dword v14, v[27:28], off
	v_cmp_ge_i32_e32 vcc, v10, v26
	s_or_b64 s[36:37], vcc, s[36:37]
	s_andn2_b64 exec, exec, s[36:37]
	s_cbranch_execnz .LBB0_24
; %bb.25:                               ;   in Loop: Header=BB0_22 Depth=2
	s_or_b64 exec, exec, s[36:37]
.LBB0_26:                               ;   in Loop: Header=BB0_22 Depth=2
	s_or_b64 exec, exec, s[30:31]
	s_waitcnt vmcnt(0)
	v_cmp_eq_u32_e32 vcc, v14, v9
	s_and_saveexec_b64 s[30:31], vcc
	s_cbranch_execz .LBB0_21
; %bb.27:                               ;   in Loop: Header=BB0_22 Depth=2
	v_mov_b32_e32 v9, s13
	v_add_co_u32_e32 v13, vcc, s12, v11
	v_ashrrev_i32_e32 v11, 31, v10
	v_addc_co_u32_e32 v14, vcc, v9, v12, vcc
	v_lshlrev_b64 v[11:12], 2, v[10:11]
	v_add_co_u32_e32 v11, vcc, s12, v11
	v_addc_co_u32_e32 v12, vcc, v9, v12, vcc
	global_load_dword v9, v[13:14], off
	global_load_dword v26, v[11:12], off
	s_waitcnt vmcnt(0)
	v_fma_f32 v9, -v25, v9, v26
	global_store_dword v[11:12], v9, off
	s_branch .LBB0_21
.LBB0_28:
	s_or_b64 exec, exec, s[0:1]
	v_cmp_lt_i32_e32 vcc, -1, v6
	s_and_saveexec_b64 s[6:7], vcc
	s_cbranch_execz .LBB0_44
; %bb.29:
	v_mov_b32_e32 v7, 0
	v_lshlrev_b64 v[6:7], 2, v[6:7]
	v_mov_b32_e32 v9, s13
	v_add_co_u32_e32 v8, vcc, s12, v6
	v_addc_co_u32_e32 v9, vcc, v9, v7, vcc
	global_load_dword v10, v[8:9], off
	v_cmp_eq_u32_e64 s[0:1], 0, v0
	s_mov_b64 s[8:9], -1
	s_waitcnt vmcnt(0)
	v_cmp_gt_f32_e32 vcc, 0, v10
	v_cndmask_b32_e64 v6, v10, -v10, vcc
	v_cvt_f64_f32_e32 v[6:7], v6
	s_andn2_b64 vcc, exec, s[34:35]
	s_cbranch_vccnz .LBB0_33
; %bb.30:
	v_cvt_f64_f32_e32 v[11:12], v15
	s_cmp_eq_u64 s[24:25], 8
	s_cselect_b64 vcc, -1, 0
	v_cndmask_b32_e32 v4, v12, v4, vcc
	v_cndmask_b32_e32 v3, v11, v3, vcc
	v_cmp_ge_f64_e32 vcc, v[3:4], v[6:7]
	s_and_b64 s[10:11], s[0:1], vcc
	s_and_saveexec_b64 s[8:9], s[10:11]
	s_cbranch_execz .LBB0_32
; %bb.31:
	global_store_dword v[8:9], v16, off
.LBB0_32:
	s_or_b64 exec, exec, s[8:9]
	s_mov_b64 s[8:9], 0
.LBB0_33:
	s_andn2_b64 vcc, exec, s[8:9]
	s_cbranch_vccnz .LBB0_44
; %bb.34:
	s_load_dwordx2 s[4:5], s[4:5], 0x48
	v_add_u32_e32 v3, s2, v5
	s_waitcnt lgkmcnt(0)
	v_cmp_ge_f64_e32 vcc, s[4:5], v[6:7]
	s_and_b64 s[4:5], s[0:1], vcc
	s_and_saveexec_b64 s[2:3], s[4:5]
	s_cbranch_execz .LBB0_39
; %bb.35:
	s_mov_b64 s[4:5], exec
	s_brev_b32 s8, -2
.LBB0_36:                               ; =>This Inner Loop Header: Depth=1
	s_ff1_i32_b64 s9, s[4:5]
	v_readlane_b32 s12, v3, s9
	s_lshl_b64 s[10:11], 1, s9
	s_min_i32 s8, s8, s12
	s_andn2_b64 s[4:5], s[4:5], s[10:11]
	s_cmp_lg_u64 s[4:5], 0
	s_cbranch_scc1 .LBB0_36
; %bb.37:
	v_mbcnt_lo_u32_b32 v4, exec_lo, 0
	v_mbcnt_hi_u32_b32 v4, exec_hi, v4
	v_cmp_eq_u32_e32 vcc, 0, v4
	s_and_saveexec_b64 s[4:5], vcc
	s_xor_b64 s[4:5], exec, s[4:5]
	s_cbranch_execz .LBB0_39
; %bb.38:
	v_mov_b32_e32 v4, 0
	v_mov_b32_e32 v5, s8
	global_atomic_smin v4, v5, s[22:23]
.LBB0_39:
	s_or_b64 exec, exec, s[2:3]
	v_cmp_eq_f32_e32 vcc, 0, v10
	s_and_b64 s[0:1], s[0:1], vcc
	s_and_b64 exec, exec, s[0:1]
	s_cbranch_execz .LBB0_44
; %bb.40:
	s_mov_b64 s[0:1], exec
	s_brev_b32 s2, -2
.LBB0_41:                               ; =>This Inner Loop Header: Depth=1
	s_ff1_i32_b64 s3, s[0:1]
	v_readlane_b32 s8, v3, s3
	s_lshl_b64 s[4:5], 1, s3
	s_min_i32 s2, s2, s8
	s_andn2_b64 s[0:1], s[0:1], s[4:5]
	s_cmp_lg_u64 s[0:1], 0
	s_cbranch_scc1 .LBB0_41
; %bb.42:
	v_mbcnt_lo_u32_b32 v3, exec_lo, 0
	v_mbcnt_hi_u32_b32 v3, exec_hi, v3
	v_cmp_eq_u32_e32 vcc, 0, v3
	s_and_saveexec_b64 s[0:1], vcc
	s_xor_b64 s[0:1], exec, s[0:1]
	s_cbranch_execz .LBB0_44
; %bb.43:
	v_mov_b32_e32 v3, 0
	v_mov_b32_e32 v4, s2
	global_atomic_smin v3, v4, s[20:21]
.LBB0_44:
	s_or_b64 exec, exec, s[6:7]
	v_cmp_eq_u32_e32 vcc, 0, v0
	s_waitcnt vmcnt(0)
	buffer_wbinvl1_vol
	s_and_b64 exec, exec, vcc
	s_cbranch_execz .LBB0_46
; %bb.45:
	v_mov_b32_e32 v3, s17
	v_add_co_u32_e32 v0, vcc, s16, v1
	v_addc_co_u32_e32 v1, vcc, v3, v2, vcc
	v_mov_b32_e32 v2, 1
	global_store_dword v[0:1], v2, off
.LBB0_46:
	s_endpgm
	.section	.rodata,"a",@progbits
	.p2align	6, 0x0
	.amdhsa_kernel _ZN9rocsparseL17csrilu0_binsearchILj256ELj64ELb1EfEEviPKiS2_PT2_S2_PiS2_S5_S5_d21rocsparse_index_base_imNS_24const_host_device_scalarIfEENS7_IdEENS7_IS3_EEb
		.amdhsa_group_segment_fixed_size 0
		.amdhsa_private_segment_fixed_size 0
		.amdhsa_kernarg_size 124
		.amdhsa_user_sgpr_count 6
		.amdhsa_user_sgpr_private_segment_buffer 1
		.amdhsa_user_sgpr_dispatch_ptr 0
		.amdhsa_user_sgpr_queue_ptr 0
		.amdhsa_user_sgpr_kernarg_segment_ptr 1
		.amdhsa_user_sgpr_dispatch_id 0
		.amdhsa_user_sgpr_flat_scratch_init 0
		.amdhsa_user_sgpr_private_segment_size 0
		.amdhsa_uses_dynamic_stack 0
		.amdhsa_system_sgpr_private_segment_wavefront_offset 0
		.amdhsa_system_sgpr_workgroup_id_x 1
		.amdhsa_system_sgpr_workgroup_id_y 0
		.amdhsa_system_sgpr_workgroup_id_z 0
		.amdhsa_system_sgpr_workgroup_info 0
		.amdhsa_system_vgpr_workitem_id 0
		.amdhsa_next_free_vgpr 30
		.amdhsa_next_free_sgpr 38
		.amdhsa_reserve_vcc 1
		.amdhsa_reserve_flat_scratch 0
		.amdhsa_float_round_mode_32 0
		.amdhsa_float_round_mode_16_64 0
		.amdhsa_float_denorm_mode_32 3
		.amdhsa_float_denorm_mode_16_64 3
		.amdhsa_dx10_clamp 1
		.amdhsa_ieee_mode 1
		.amdhsa_fp16_overflow 0
		.amdhsa_exception_fp_ieee_invalid_op 0
		.amdhsa_exception_fp_denorm_src 0
		.amdhsa_exception_fp_ieee_div_zero 0
		.amdhsa_exception_fp_ieee_overflow 0
		.amdhsa_exception_fp_ieee_underflow 0
		.amdhsa_exception_fp_ieee_inexact 0
		.amdhsa_exception_int_div_zero 0
	.end_amdhsa_kernel
	.section	.text._ZN9rocsparseL17csrilu0_binsearchILj256ELj64ELb1EfEEviPKiS2_PT2_S2_PiS2_S5_S5_d21rocsparse_index_base_imNS_24const_host_device_scalarIfEENS7_IdEENS7_IS3_EEb,"axG",@progbits,_ZN9rocsparseL17csrilu0_binsearchILj256ELj64ELb1EfEEviPKiS2_PT2_S2_PiS2_S5_S5_d21rocsparse_index_base_imNS_24const_host_device_scalarIfEENS7_IdEENS7_IS3_EEb,comdat
.Lfunc_end0:
	.size	_ZN9rocsparseL17csrilu0_binsearchILj256ELj64ELb1EfEEviPKiS2_PT2_S2_PiS2_S5_S5_d21rocsparse_index_base_imNS_24const_host_device_scalarIfEENS7_IdEENS7_IS3_EEb, .Lfunc_end0-_ZN9rocsparseL17csrilu0_binsearchILj256ELj64ELb1EfEEviPKiS2_PT2_S2_PiS2_S5_S5_d21rocsparse_index_base_imNS_24const_host_device_scalarIfEENS7_IdEENS7_IS3_EEb
                                        ; -- End function
	.set _ZN9rocsparseL17csrilu0_binsearchILj256ELj64ELb1EfEEviPKiS2_PT2_S2_PiS2_S5_S5_d21rocsparse_index_base_imNS_24const_host_device_scalarIfEENS7_IdEENS7_IS3_EEb.num_vgpr, 30
	.set _ZN9rocsparseL17csrilu0_binsearchILj256ELj64ELb1EfEEviPKiS2_PT2_S2_PiS2_S5_S5_d21rocsparse_index_base_imNS_24const_host_device_scalarIfEENS7_IdEENS7_IS3_EEb.num_agpr, 0
	.set _ZN9rocsparseL17csrilu0_binsearchILj256ELj64ELb1EfEEviPKiS2_PT2_S2_PiS2_S5_S5_d21rocsparse_index_base_imNS_24const_host_device_scalarIfEENS7_IdEENS7_IS3_EEb.numbered_sgpr, 38
	.set _ZN9rocsparseL17csrilu0_binsearchILj256ELj64ELb1EfEEviPKiS2_PT2_S2_PiS2_S5_S5_d21rocsparse_index_base_imNS_24const_host_device_scalarIfEENS7_IdEENS7_IS3_EEb.num_named_barrier, 0
	.set _ZN9rocsparseL17csrilu0_binsearchILj256ELj64ELb1EfEEviPKiS2_PT2_S2_PiS2_S5_S5_d21rocsparse_index_base_imNS_24const_host_device_scalarIfEENS7_IdEENS7_IS3_EEb.private_seg_size, 0
	.set _ZN9rocsparseL17csrilu0_binsearchILj256ELj64ELb1EfEEviPKiS2_PT2_S2_PiS2_S5_S5_d21rocsparse_index_base_imNS_24const_host_device_scalarIfEENS7_IdEENS7_IS3_EEb.uses_vcc, 1
	.set _ZN9rocsparseL17csrilu0_binsearchILj256ELj64ELb1EfEEviPKiS2_PT2_S2_PiS2_S5_S5_d21rocsparse_index_base_imNS_24const_host_device_scalarIfEENS7_IdEENS7_IS3_EEb.uses_flat_scratch, 0
	.set _ZN9rocsparseL17csrilu0_binsearchILj256ELj64ELb1EfEEviPKiS2_PT2_S2_PiS2_S5_S5_d21rocsparse_index_base_imNS_24const_host_device_scalarIfEENS7_IdEENS7_IS3_EEb.has_dyn_sized_stack, 0
	.set _ZN9rocsparseL17csrilu0_binsearchILj256ELj64ELb1EfEEviPKiS2_PT2_S2_PiS2_S5_S5_d21rocsparse_index_base_imNS_24const_host_device_scalarIfEENS7_IdEENS7_IS3_EEb.has_recursion, 0
	.set _ZN9rocsparseL17csrilu0_binsearchILj256ELj64ELb1EfEEviPKiS2_PT2_S2_PiS2_S5_S5_d21rocsparse_index_base_imNS_24const_host_device_scalarIfEENS7_IdEENS7_IS3_EEb.has_indirect_call, 0
	.section	.AMDGPU.csdata,"",@progbits
; Kernel info:
; codeLenInByte = 1568
; TotalNumSgprs: 42
; NumVgprs: 30
; ScratchSize: 0
; MemoryBound: 0
; FloatMode: 240
; IeeeMode: 1
; LDSByteSize: 0 bytes/workgroup (compile time only)
; SGPRBlocks: 5
; VGPRBlocks: 7
; NumSGPRsForWavesPerEU: 42
; NumVGPRsForWavesPerEU: 30
; Occupancy: 8
; WaveLimiterHint : 1
; COMPUTE_PGM_RSRC2:SCRATCH_EN: 0
; COMPUTE_PGM_RSRC2:USER_SGPR: 6
; COMPUTE_PGM_RSRC2:TRAP_HANDLER: 0
; COMPUTE_PGM_RSRC2:TGID_X_EN: 1
; COMPUTE_PGM_RSRC2:TGID_Y_EN: 0
; COMPUTE_PGM_RSRC2:TGID_Z_EN: 0
; COMPUTE_PGM_RSRC2:TIDIG_COMP_CNT: 0
	.section	.text._ZN9rocsparseL12csrilu0_hashILj256ELj32ELj1EfEEviPKiS2_PT2_S2_PiS2_S5_S5_d21rocsparse_index_base_imNS_24const_host_device_scalarIfEENS7_IdEENS7_IS3_EEb,"axG",@progbits,_ZN9rocsparseL12csrilu0_hashILj256ELj32ELj1EfEEviPKiS2_PT2_S2_PiS2_S5_S5_d21rocsparse_index_base_imNS_24const_host_device_scalarIfEENS7_IdEENS7_IS3_EEb,comdat
	.globl	_ZN9rocsparseL12csrilu0_hashILj256ELj32ELj1EfEEviPKiS2_PT2_S2_PiS2_S5_S5_d21rocsparse_index_base_imNS_24const_host_device_scalarIfEENS7_IdEENS7_IS3_EEb ; -- Begin function _ZN9rocsparseL12csrilu0_hashILj256ELj32ELj1EfEEviPKiS2_PT2_S2_PiS2_S5_S5_d21rocsparse_index_base_imNS_24const_host_device_scalarIfEENS7_IdEENS7_IS3_EEb
	.p2align	8
	.type	_ZN9rocsparseL12csrilu0_hashILj256ELj32ELj1EfEEviPKiS2_PT2_S2_PiS2_S5_S5_d21rocsparse_index_base_imNS_24const_host_device_scalarIfEENS7_IdEENS7_IS3_EEb,@function
_ZN9rocsparseL12csrilu0_hashILj256ELj32ELj1EfEEviPKiS2_PT2_S2_PiS2_S5_S5_d21rocsparse_index_base_imNS_24const_host_device_scalarIfEENS7_IdEENS7_IS3_EEb: ; @_ZN9rocsparseL12csrilu0_hashILj256ELj32ELj1EfEEviPKiS2_PT2_S2_PiS2_S5_S5_d21rocsparse_index_base_imNS_24const_host_device_scalarIfEENS7_IdEENS7_IS3_EEb
; %bb.0:
	s_load_dword s0, s[4:5], 0x78
	s_load_dwordx2 s[2:3], s[4:5], 0x50
	s_load_dwordx8 s[24:31], s[4:5], 0x58
	s_waitcnt lgkmcnt(0)
	s_bitcmp1_b32 s0, 0
	s_cselect_b64 s[0:1], -1, 0
	s_cmp_eq_u32 s3, 0
	s_cselect_b64 s[8:9], -1, 0
	s_cmp_lg_u32 s3, 0
	s_cselect_b64 s[34:35], -1, 0
	s_or_b64 s[0:1], s[8:9], s[0:1]
	s_xor_b64 s[10:11], s[0:1], -1
	s_and_b64 s[12:13], s[8:9], exec
	s_cselect_b32 s13, 0, s29
	s_cselect_b32 s12, 0, s28
	s_and_b64 vcc, exec, s[0:1]
	s_cbranch_vccnz .LBB1_2
; %bb.1:
	s_load_dword s0, s[26:27], 0x0
	s_mov_b64 s[12:13], s[28:29]
	s_waitcnt lgkmcnt(0)
	v_mov_b32_e32 v13, s0
	s_branch .LBB1_3
.LBB1_2:
	v_mov_b32_e32 v1, s26
	v_cndmask_b32_e64 v13, v1, 0, s[8:9]
.LBB1_3:
	v_cndmask_b32_e64 v1, 0, 1, s[10:11]
	v_mov_b32_e32 v2, s12
	v_cmp_ne_u32_e64 s[0:1], 1, v1
	s_andn2_b64 vcc, exec, s[10:11]
	v_mov_b32_e32 v3, s13
	s_cbranch_vccnz .LBB1_5
; %bb.4:
	v_mov_b32_e32 v1, s28
	v_mov_b32_e32 v2, s29
	flat_load_dwordx2 v[2:3], v[1:2]
.LBB1_5:
	s_and_b64 vcc, exec, s[0:1]
	s_cbranch_vccnz .LBB1_7
; %bb.6:
	s_load_dword s0, s[30:31], 0x0
	s_waitcnt lgkmcnt(0)
	v_mov_b32_e32 v14, s0
	s_branch .LBB1_8
.LBB1_7:
	v_mov_b32_e32 v1, s30
	v_cndmask_b32_e64 v14, v1, 0, s[8:9]
.LBB1_8:
	s_load_dword s0, s[4:5], 0x0
	s_lshl_b32 s1, s6, 3
	v_and_b32_e32 v12, 31, v0
	v_and_b32_e32 v6, 0xe0, v0
	v_mov_b32_e32 v1, 0x400
	v_lshrrev_b32_e32 v0, 5, v0
	s_and_b32 s1, s1, 0x7fffff8
	v_lshl_or_b32 v15, v6, 2, v1
	v_or_b32_e32 v0, s1, v0
	v_lshl_or_b32 v1, v12, 2, v15
	v_mov_b32_e32 v4, -1
	s_waitcnt lgkmcnt(0)
	v_cmp_gt_i32_e32 vcc, s0, v0
	ds_write_b32 v1, v4
	s_waitcnt lgkmcnt(0)
	s_and_saveexec_b64 s[0:1], vcc
	s_cbranch_execz .LBB1_80
; %bb.9:
	s_load_dwordx16 s[8:23], s[4:5], 0x8
	v_lshlrev_b32_e32 v0, 2, v0
	v_lshlrev_b32_e32 v16, 2, v6
	s_waitcnt lgkmcnt(0)
	global_load_dword v4, v0, s[18:19]
	v_mov_b32_e32 v8, s9
	v_mov_b32_e32 v10, s15
	s_waitcnt vmcnt(0)
	v_ashrrev_i32_e32 v5, 31, v4
	v_lshlrev_b64 v[0:1], 2, v[4:5]
	v_add_co_u32_e32 v7, vcc, s8, v0
	v_addc_co_u32_e32 v8, vcc, v8, v1, vcc
	global_load_dwordx2 v[7:8], v[7:8], off
	v_add_co_u32_e32 v9, vcc, s14, v0
	v_addc_co_u32_e32 v10, vcc, v10, v1, vcc
	global_load_dword v5, v[9:10], off
	s_waitcnt vmcnt(1)
	v_subrev_u32_e32 v6, s2, v7
	v_subrev_u32_e32 v9, s2, v8
	v_add_u32_e32 v7, v6, v12
	v_cmp_lt_i32_e32 vcc, v7, v9
	s_and_saveexec_b64 s[0:1], vcc
	s_cbranch_execz .LBB1_32
; %bb.10:
	s_mov_b64 s[6:7], 0
	v_mov_b32_e32 v10, s11
	v_mov_b32_e32 v11, -1
	s_branch .LBB1_12
.LBB1_11:                               ;   in Loop: Header=BB1_12 Depth=1
	s_or_b64 exec, exec, s[18:19]
	v_add_u32_e32 v7, 32, v7
	v_cmp_ge_i32_e32 vcc, v7, v9
	s_or_b64 s[6:7], vcc, s[6:7]
	s_andn2_b64 exec, exec, s[6:7]
	s_cbranch_execz .LBB1_32
.LBB1_12:                               ; =>This Loop Header: Depth=1
                                        ;     Child Loop BB1_21 Depth 2
	v_ashrrev_i32_e32 v8, 31, v7
	v_lshlrev_b64 v[17:18], 2, v[7:8]
	s_mov_b64 s[26:27], 0
	v_add_co_u32_e32 v17, vcc, s10, v17
	v_addc_co_u32_e32 v18, vcc, v10, v18, vcc
	global_load_dword v8, v[17:18], off
	v_mov_b32_e32 v17, 32
                                        ; implicit-def: $sgpr18_sgpr19
                                        ; implicit-def: $sgpr28_sgpr29
                                        ; implicit-def: $sgpr30_sgpr31
	s_waitcnt vmcnt(0)
	v_mul_lo_u32 v19, v8, 7
	s_branch .LBB1_21
.LBB1_13:                               ;   in Loop: Header=BB1_21 Depth=2
	s_or_b64 exec, exec, s[54:55]
	s_orn2_b64 s[50:51], s[50:51], exec
	s_orn2_b64 s[52:53], s[52:53], exec
.LBB1_14:                               ;   in Loop: Header=BB1_21 Depth=2
	s_or_b64 exec, exec, s[48:49]
	s_and_b64 s[50:51], s[50:51], exec
	s_orn2_b64 s[48:49], s[52:53], exec
.LBB1_15:                               ;   in Loop: Header=BB1_21 Depth=2
	s_or_b64 exec, exec, s[46:47]
	s_orn2_b64 s[50:51], s[50:51], exec
	s_orn2_b64 s[46:47], s[48:49], exec
.LBB1_16:                               ;   in Loop: Header=BB1_21 Depth=2
	s_or_b64 exec, exec, s[44:45]
	s_and_b64 s[48:49], s[50:51], exec
	s_orn2_b64 s[44:45], s[46:47], exec
.LBB1_17:                               ;   in Loop: Header=BB1_21 Depth=2
	s_or_b64 exec, exec, s[42:43]
	s_orn2_b64 s[42:43], s[48:49], exec
	s_orn2_b64 s[44:45], s[44:45], exec
.LBB1_18:                               ;   in Loop: Header=BB1_21 Depth=2
	s_or_b64 exec, exec, s[40:41]
	s_and_b64 s[42:43], s[42:43], exec
	s_orn2_b64 s[40:41], s[44:45], exec
.LBB1_19:                               ;   in Loop: Header=BB1_21 Depth=2
	s_or_b64 exec, exec, s[38:39]
	s_andn2_b64 s[30:31], s[30:31], exec
	s_and_b64 s[38:39], s[42:43], exec
	s_or_b64 s[30:31], s[30:31], s[38:39]
	s_andn2_b64 s[28:29], s[28:29], exec
	s_and_b64 s[38:39], s[40:41], exec
	s_or_b64 s[28:29], s[28:29], s[38:39]
.LBB1_20:                               ;   in Loop: Header=BB1_21 Depth=2
	s_or_b64 exec, exec, s[36:37]
	s_and_b64 s[36:37], exec, s[28:29]
	s_or_b64 s[26:27], s[36:37], s[26:27]
	s_andn2_b64 s[18:19], s[18:19], exec
	s_and_b64 s[36:37], s[30:31], exec
	s_or_b64 s[18:19], s[18:19], s[36:37]
	s_andn2_b64 exec, exec, s[26:27]
	s_cbranch_execz .LBB1_30
.LBB1_21:                               ;   Parent Loop BB1_12 Depth=1
                                        ; =>  This Inner Loop Header: Depth=2
	v_and_b32_e32 v18, 31, v19
	v_lshl_add_u32 v20, v18, 2, v15
	ds_read_b32 v21, v20
	s_or_b64 s[30:31], s[30:31], exec
	s_or_b64 s[28:29], s[28:29], exec
	s_waitcnt lgkmcnt(0)
	v_cmp_ne_u32_e32 vcc, v21, v8
	s_and_saveexec_b64 s[36:37], vcc
	s_cbranch_execz .LBB1_20
; %bb.22:                               ;   in Loop: Header=BB1_21 Depth=2
	ds_cmpst_rtn_b32 v20, v20, v11, v8
	s_mov_b64 s[40:41], -1
	s_mov_b64 s[42:43], 0
	s_waitcnt lgkmcnt(0)
	v_cmp_ne_u32_e32 vcc, -1, v20
	s_and_saveexec_b64 s[38:39], vcc
	s_cbranch_execz .LBB1_19
; %bb.23:                               ;   in Loop: Header=BB1_21 Depth=2
	v_add_u32_e32 v18, 1, v19
	v_and_b32_e32 v18, 31, v18
	v_lshl_add_u32 v20, v18, 2, v15
	ds_read_b32 v21, v20
	s_mov_b64 s[44:45], -1
	s_mov_b64 s[42:43], -1
	s_waitcnt lgkmcnt(0)
	v_cmp_ne_u32_e32 vcc, v21, v8
	s_and_saveexec_b64 s[40:41], vcc
	s_cbranch_execz .LBB1_18
; %bb.24:                               ;   in Loop: Header=BB1_21 Depth=2
	ds_cmpst_rtn_b32 v20, v20, v11, v8
	s_mov_b64 s[48:49], 0
	s_waitcnt lgkmcnt(0)
	v_cmp_ne_u32_e32 vcc, -1, v20
	s_and_saveexec_b64 s[42:43], vcc
	s_cbranch_execz .LBB1_17
; %bb.25:                               ;   in Loop: Header=BB1_21 Depth=2
	v_add_u32_e32 v18, 2, v19
	v_and_b32_e32 v18, 31, v18
	v_lshl_add_u32 v20, v18, 2, v15
	ds_read_b32 v21, v20
	s_mov_b64 s[46:47], -1
	s_mov_b64 s[50:51], -1
	s_waitcnt lgkmcnt(0)
	v_cmp_ne_u32_e32 vcc, v21, v8
	s_and_saveexec_b64 s[44:45], vcc
	s_cbranch_execz .LBB1_16
; %bb.26:                               ;   in Loop: Header=BB1_21 Depth=2
	ds_cmpst_rtn_b32 v20, v20, v11, v8
	s_mov_b64 s[48:49], -1
	s_mov_b64 s[50:51], 0
	s_waitcnt lgkmcnt(0)
	v_cmp_ne_u32_e32 vcc, -1, v20
	s_and_saveexec_b64 s[46:47], vcc
	s_cbranch_execz .LBB1_15
; %bb.27:                               ;   in Loop: Header=BB1_21 Depth=2
	v_add_u32_e32 v18, 3, v19
	v_and_b32_e32 v18, 31, v18
	v_lshl_add_u32 v20, v18, 2, v15
	ds_read_b32 v19, v20
	s_mov_b64 s[52:53], -1
	s_mov_b64 s[50:51], -1
	s_waitcnt lgkmcnt(0)
	v_cmp_ne_u32_e32 vcc, v19, v8
                                        ; implicit-def: $vgpr19
	s_and_saveexec_b64 s[48:49], vcc
	s_cbranch_execz .LBB1_14
; %bb.28:                               ;   in Loop: Header=BB1_21 Depth=2
	ds_cmpst_rtn_b32 v19, v20, v11, v8
	s_mov_b64 s[50:51], 0
	s_waitcnt lgkmcnt(0)
	v_cmp_ne_u32_e32 vcc, -1, v19
                                        ; implicit-def: $vgpr19
	s_and_saveexec_b64 s[54:55], vcc
	s_cbranch_execz .LBB1_13
; %bb.29:                               ;   in Loop: Header=BB1_21 Depth=2
	v_add_u32_e32 v17, -4, v17
	v_cmp_eq_u32_e32 vcc, 0, v17
	s_mov_b64 s[50:51], exec
	v_add_u32_e32 v19, 1, v18
	s_orn2_b64 s[52:53], vcc, exec
	s_branch .LBB1_13
.LBB1_30:                               ;   in Loop: Header=BB1_12 Depth=1
	s_or_b64 exec, exec, s[26:27]
	s_xor_b64 s[18:19], s[18:19], -1
	s_and_saveexec_b64 s[26:27], s[18:19]
	s_xor_b64 s[18:19], exec, s[26:27]
	s_cbranch_execz .LBB1_11
; %bb.31:                               ;   in Loop: Header=BB1_12 Depth=1
	v_lshl_add_u32 v8, v18, 2, v16
	ds_write_b32 v8, v7
	s_branch .LBB1_11
.LBB1_32:
	s_or_b64 exec, exec, s[0:1]
	s_waitcnt vmcnt(0)
	v_cmp_lt_i32_e32 vcc, v6, v5
	s_waitcnt lgkmcnt(0)
	s_and_saveexec_b64 s[0:1], vcc
	s_cbranch_execz .LBB1_62
; %bb.33:
	s_mov_b64 s[6:7], 0
	v_mov_b32_e32 v17, s11
	v_mov_b32_e32 v18, s13
	;; [unrolled: 1-line block ×5, first 2 shown]
	s_branch .LBB1_36
.LBB1_34:                               ;   in Loop: Header=BB1_36 Depth=1
	s_or_b64 exec, exec, s[26:27]
	v_add_u32_e32 v6, 1, v6
	v_cmp_ge_i32_e32 vcc, v6, v5
	s_orn2_b64 s[26:27], vcc, exec
.LBB1_35:                               ;   in Loop: Header=BB1_36 Depth=1
	s_or_b64 exec, exec, s[18:19]
	s_and_b64 s[18:19], exec, s[26:27]
	s_or_b64 s[6:7], s[18:19], s[6:7]
	s_andn2_b64 exec, exec, s[6:7]
	s_cbranch_execz .LBB1_62
.LBB1_36:                               ; =>This Loop Header: Depth=1
                                        ;     Child Loop BB1_37 Depth 2
                                        ;     Child Loop BB1_42 Depth 2
                                        ;       Child Loop BB1_51 Depth 3
	v_ashrrev_i32_e32 v7, 31, v6
	v_lshlrev_b64 v[8:9], 2, v[6:7]
	s_mov_b64 s[18:19], 0
	v_add_co_u32_e32 v10, vcc, s10, v8
	v_addc_co_u32_e32 v11, vcc, v17, v9, vcc
	global_load_dword v7, v[10:11], off
	v_add_co_u32_e32 v8, vcc, s12, v8
	v_addc_co_u32_e32 v9, vcc, v18, v9, vcc
	global_load_dword v23, v[8:9], off
	s_waitcnt vmcnt(1)
	v_subrev_u32_e32 v10, s2, v7
	v_ashrrev_i32_e32 v11, 31, v10
	v_lshlrev_b64 v[10:11], 2, v[10:11]
	v_add_co_u32_e32 v25, vcc, s8, v10
	v_addc_co_u32_e32 v26, vcc, v19, v11, vcc
	v_add_co_u32_e32 v27, vcc, s14, v10
	v_addc_co_u32_e32 v28, vcc, v20, v11, vcc
	global_load_dword v7, v[25:26], off offset:4
	global_load_dword v24, v[27:28], off
	v_add_co_u32_e32 v10, vcc, s16, v10
	v_addc_co_u32_e32 v11, vcc, v21, v11, vcc
.LBB1_37:                               ;   Parent Loop BB1_36 Depth=1
                                        ; =>  This Inner Loop Header: Depth=2
	global_load_dword v22, v[10:11], off glc
	s_waitcnt vmcnt(0)
	v_cmp_ne_u32_e32 vcc, 0, v22
	s_or_b64 s[18:19], vcc, s[18:19]
	s_andn2_b64 exec, exec, s[18:19]
	s_cbranch_execnz .LBB1_37
; %bb.38:                               ;   in Loop: Header=BB1_36 Depth=1
	s_or_b64 exec, exec, s[18:19]
	v_subrev_u32_e32 v22, s2, v7
	v_add_u32_e32 v7, -1, v22
	v_cmp_eq_u32_e32 vcc, -1, v24
	v_cndmask_b32_e32 v10, v24, v7, vcc
	v_ashrrev_i32_e32 v11, 31, v10
	v_lshlrev_b64 v[24:25], 2, v[10:11]
	buffer_wbinvl1_vol
	v_add_co_u32_e32 v24, vcc, s12, v24
	v_addc_co_u32_e32 v25, vcc, v18, v25, vcc
	global_load_dword v11, v[24:25], off
	s_mov_b64 s[26:27], -1
	s_waitcnt vmcnt(0)
	v_cmp_neq_f32_e32 vcc, 0, v11
	s_and_saveexec_b64 s[18:19], vcc
	s_cbranch_execz .LBB1_35
; %bb.39:                               ;   in Loop: Header=BB1_36 Depth=1
	v_div_scale_f32 v7, s[26:27], v11, v11, v23
	v_div_scale_f32 v24, vcc, v23, v11, v23
	v_rcp_f32_e32 v25, v7
	v_fma_f32 v26, -v7, v25, 1.0
	v_fmac_f32_e32 v25, v26, v25
	v_mul_f32_e32 v26, v24, v25
	v_fma_f32 v27, -v7, v26, v24
	v_fmac_f32_e32 v26, v27, v25
	v_fma_f32 v7, -v7, v26, v24
	v_div_fmas_f32 v24, v7, v25, v26
	v_add_u32_e32 v7, 1, v12
	v_add_u32_e32 v7, v7, v10
	v_cmp_lt_i32_e32 vcc, v7, v22
	v_div_fixup_f32 v10, v24, v11, v23
	global_store_dword v[8:9], v10, off
	s_and_saveexec_b64 s[26:27], vcc
	s_cbranch_execz .LBB1_34
; %bb.40:                               ;   in Loop: Header=BB1_36 Depth=1
	s_mov_b64 s[28:29], 0
	s_branch .LBB1_42
.LBB1_41:                               ;   in Loop: Header=BB1_42 Depth=2
	s_or_b64 exec, exec, s[30:31]
	v_add_u32_e32 v7, 32, v7
	v_cmp_ge_i32_e32 vcc, v7, v22
	s_or_b64 s[28:29], vcc, s[28:29]
	s_andn2_b64 exec, exec, s[28:29]
	s_cbranch_execz .LBB1_34
.LBB1_42:                               ;   Parent Loop BB1_36 Depth=1
                                        ; =>  This Loop Header: Depth=2
                                        ;       Child Loop BB1_51 Depth 3
	v_ashrrev_i32_e32 v8, 31, v7
	v_lshlrev_b64 v[8:9], 2, v[7:8]
	v_mov_b32_e32 v11, s11
	v_add_co_u32_e32 v23, vcc, s10, v8
	v_addc_co_u32_e32 v24, vcc, v11, v9, vcc
	global_load_dword v11, v[23:24], off
	v_mov_b32_e32 v23, 32
	s_mov_b64 s[36:37], 0
                                        ; implicit-def: $sgpr30_sgpr31
                                        ; implicit-def: $sgpr38_sgpr39
                                        ; implicit-def: $sgpr40_sgpr41
	s_waitcnt vmcnt(0)
	v_mul_lo_u32 v25, v11, 7
	s_branch .LBB1_51
.LBB1_43:                               ;   in Loop: Header=BB1_51 Depth=3
	s_or_b64 exec, exec, s[60:61]
	s_orn2_b64 s[56:57], s[56:57], exec
	s_orn2_b64 s[58:59], s[58:59], exec
.LBB1_44:                               ;   in Loop: Header=BB1_51 Depth=3
	s_or_b64 exec, exec, s[54:55]
	s_and_b64 s[56:57], s[56:57], exec
	s_orn2_b64 s[54:55], s[58:59], exec
.LBB1_45:                               ;   in Loop: Header=BB1_51 Depth=3
	s_or_b64 exec, exec, s[52:53]
	s_orn2_b64 s[56:57], s[56:57], exec
	s_orn2_b64 s[52:53], s[54:55], exec
.LBB1_46:                               ;   in Loop: Header=BB1_51 Depth=3
	s_or_b64 exec, exec, s[50:51]
	s_and_b64 s[54:55], s[56:57], exec
	s_orn2_b64 s[50:51], s[52:53], exec
.LBB1_47:                               ;   in Loop: Header=BB1_51 Depth=3
	s_or_b64 exec, exec, s[48:49]
	s_orn2_b64 s[48:49], s[54:55], exec
	s_orn2_b64 s[50:51], s[50:51], exec
.LBB1_48:                               ;   in Loop: Header=BB1_51 Depth=3
	s_or_b64 exec, exec, s[46:47]
	s_and_b64 s[48:49], s[48:49], exec
	s_orn2_b64 s[46:47], s[50:51], exec
.LBB1_49:                               ;   in Loop: Header=BB1_51 Depth=3
	s_or_b64 exec, exec, s[44:45]
	s_andn2_b64 s[40:41], s[40:41], exec
	s_and_b64 s[44:45], s[48:49], exec
	s_or_b64 s[40:41], s[40:41], s[44:45]
	s_andn2_b64 s[38:39], s[38:39], exec
	s_and_b64 s[44:45], s[46:47], exec
	s_or_b64 s[38:39], s[38:39], s[44:45]
.LBB1_50:                               ;   in Loop: Header=BB1_51 Depth=3
	s_or_b64 exec, exec, s[42:43]
	s_and_b64 s[42:43], exec, s[38:39]
	s_or_b64 s[36:37], s[42:43], s[36:37]
	s_andn2_b64 s[30:31], s[30:31], exec
	s_and_b64 s[42:43], s[40:41], exec
	s_or_b64 s[30:31], s[30:31], s[42:43]
	s_andn2_b64 exec, exec, s[36:37]
	s_cbranch_execz .LBB1_60
.LBB1_51:                               ;   Parent Loop BB1_36 Depth=1
                                        ;     Parent Loop BB1_42 Depth=2
                                        ; =>    This Inner Loop Header: Depth=3
	v_and_b32_e32 v24, 31, v25
	v_lshl_add_u32 v26, v24, 2, v15
	ds_read_b32 v26, v26
	s_or_b64 s[40:41], s[40:41], exec
	s_or_b64 s[38:39], s[38:39], exec
	s_waitcnt lgkmcnt(0)
	v_cmp_ne_u32_e32 vcc, -1, v26
	s_and_saveexec_b64 s[42:43], vcc
	s_cbranch_execz .LBB1_50
; %bb.52:                               ;   in Loop: Header=BB1_51 Depth=3
	v_cmp_ne_u32_e32 vcc, v26, v11
	s_mov_b64 s[46:47], -1
	s_mov_b64 s[48:49], 0
	s_and_saveexec_b64 s[44:45], vcc
	s_cbranch_execz .LBB1_49
; %bb.53:                               ;   in Loop: Header=BB1_51 Depth=3
	v_add_u32_e32 v24, 1, v25
	v_and_b32_e32 v24, 31, v24
	v_lshl_add_u32 v26, v24, 2, v15
	ds_read_b32 v26, v26
	s_mov_b64 s[50:51], -1
	s_mov_b64 s[48:49], -1
	s_waitcnt lgkmcnt(0)
	v_cmp_ne_u32_e32 vcc, -1, v26
	s_and_saveexec_b64 s[46:47], vcc
	s_cbranch_execz .LBB1_48
; %bb.54:                               ;   in Loop: Header=BB1_51 Depth=3
	v_cmp_ne_u32_e32 vcc, v26, v11
	s_mov_b64 s[54:55], 0
	s_and_saveexec_b64 s[48:49], vcc
	s_cbranch_execz .LBB1_47
; %bb.55:                               ;   in Loop: Header=BB1_51 Depth=3
	v_add_u32_e32 v24, 2, v25
	v_and_b32_e32 v24, 31, v24
	v_lshl_add_u32 v26, v24, 2, v15
	ds_read_b32 v26, v26
	s_mov_b64 s[52:53], -1
	s_mov_b64 s[56:57], -1
	s_waitcnt lgkmcnt(0)
	v_cmp_ne_u32_e32 vcc, -1, v26
	s_and_saveexec_b64 s[50:51], vcc
	s_cbranch_execz .LBB1_46
; %bb.56:                               ;   in Loop: Header=BB1_51 Depth=3
	v_cmp_ne_u32_e32 vcc, v26, v11
	s_mov_b64 s[54:55], -1
	s_mov_b64 s[56:57], 0
	s_and_saveexec_b64 s[52:53], vcc
	s_cbranch_execz .LBB1_45
; %bb.57:                               ;   in Loop: Header=BB1_51 Depth=3
	v_add_u32_e32 v24, 3, v25
	v_and_b32_e32 v24, 31, v24
	v_lshl_add_u32 v25, v24, 2, v15
	ds_read_b32 v26, v25
	s_mov_b64 s[58:59], -1
	s_mov_b64 s[56:57], -1
                                        ; implicit-def: $vgpr25
	s_waitcnt lgkmcnt(0)
	v_cmp_ne_u32_e32 vcc, -1, v26
	s_and_saveexec_b64 s[54:55], vcc
	s_cbranch_execz .LBB1_44
; %bb.58:                               ;   in Loop: Header=BB1_51 Depth=3
	v_cmp_ne_u32_e32 vcc, v26, v11
	s_mov_b64 s[56:57], 0
                                        ; implicit-def: $vgpr25
	s_and_saveexec_b64 s[60:61], vcc
	s_cbranch_execz .LBB1_43
; %bb.59:                               ;   in Loop: Header=BB1_51 Depth=3
	v_add_u32_e32 v23, -4, v23
	v_cmp_eq_u32_e32 vcc, 0, v23
	s_mov_b64 s[56:57], exec
	v_add_u32_e32 v25, 1, v24
	s_orn2_b64 s[58:59], vcc, exec
	s_branch .LBB1_43
.LBB1_60:                               ;   in Loop: Header=BB1_42 Depth=2
	s_or_b64 exec, exec, s[36:37]
	s_xor_b64 s[30:31], s[30:31], -1
	s_and_saveexec_b64 s[36:37], s[30:31]
	s_xor_b64 s[30:31], exec, s[36:37]
	s_cbranch_execz .LBB1_41
; %bb.61:                               ;   in Loop: Header=BB1_42 Depth=2
	v_lshl_add_u32 v11, v24, 2, v16
	ds_read_b32 v23, v11
	v_mov_b32_e32 v11, s13
	v_add_co_u32_e32 v8, vcc, s12, v8
	v_addc_co_u32_e32 v9, vcc, v11, v9, vcc
	s_waitcnt lgkmcnt(0)
	v_ashrrev_i32_e32 v24, 31, v23
	v_lshlrev_b64 v[23:24], 2, v[23:24]
	v_add_co_u32_e32 v23, vcc, s12, v23
	v_addc_co_u32_e32 v24, vcc, v11, v24, vcc
	global_load_dword v11, v[8:9], off
	global_load_dword v25, v[23:24], off
	s_waitcnt vmcnt(0)
	v_fma_f32 v8, -v10, v11, v25
	global_store_dword v[23:24], v8, off
	s_branch .LBB1_41
.LBB1_62:
	s_or_b64 exec, exec, s[0:1]
	v_cmp_lt_i32_e32 vcc, -1, v5
	s_and_saveexec_b64 s[6:7], vcc
	s_cbranch_execz .LBB1_78
; %bb.63:
	v_mov_b32_e32 v6, 0
	v_lshlrev_b64 v[5:6], 2, v[5:6]
	v_mov_b32_e32 v8, s13
	v_add_co_u32_e32 v7, vcc, s12, v5
	v_addc_co_u32_e32 v8, vcc, v8, v6, vcc
	global_load_dword v9, v[7:8], off
	v_cmp_eq_u32_e64 s[0:1], 0, v12
	s_mov_b64 s[8:9], -1
	s_waitcnt vmcnt(0)
	v_cmp_gt_f32_e32 vcc, 0, v9
	v_cndmask_b32_e64 v5, v9, -v9, vcc
	v_cvt_f64_f32_e32 v[5:6], v5
	s_andn2_b64 vcc, exec, s[34:35]
	s_cbranch_vccnz .LBB1_67
; %bb.64:
	v_cvt_f64_f32_e32 v[10:11], v13
	s_cmp_eq_u64 s[24:25], 8
	s_cselect_b64 vcc, -1, 0
	v_cndmask_b32_e32 v3, v11, v3, vcc
	v_cndmask_b32_e32 v2, v10, v2, vcc
	v_cmp_ge_f64_e32 vcc, v[2:3], v[5:6]
	s_and_b64 s[10:11], s[0:1], vcc
	s_and_saveexec_b64 s[8:9], s[10:11]
	s_cbranch_execz .LBB1_66
; %bb.65:
	global_store_dword v[7:8], v14, off
	s_waitcnt vmcnt(0)
	buffer_wbinvl1_vol
.LBB1_66:
	s_or_b64 exec, exec, s[8:9]
	s_mov_b64 s[8:9], 0
.LBB1_67:
	s_andn2_b64 vcc, exec, s[8:9]
	s_cbranch_vccnz .LBB1_78
; %bb.68:
	s_load_dwordx2 s[4:5], s[4:5], 0x48
	v_add_u32_e32 v2, s2, v4
	s_waitcnt lgkmcnt(0)
	v_cmp_ge_f64_e32 vcc, s[4:5], v[5:6]
	s_and_b64 s[4:5], s[0:1], vcc
	s_and_saveexec_b64 s[2:3], s[4:5]
	s_cbranch_execz .LBB1_73
; %bb.69:
	s_mov_b64 s[4:5], exec
	s_brev_b32 s8, -2
.LBB1_70:                               ; =>This Inner Loop Header: Depth=1
	s_ff1_i32_b64 s9, s[4:5]
	v_readlane_b32 s12, v2, s9
	s_lshl_b64 s[10:11], 1, s9
	s_min_i32 s8, s8, s12
	s_andn2_b64 s[4:5], s[4:5], s[10:11]
	s_cmp_lg_u64 s[4:5], 0
	s_cbranch_scc1 .LBB1_70
; %bb.71:
	v_mbcnt_lo_u32_b32 v3, exec_lo, 0
	v_mbcnt_hi_u32_b32 v3, exec_hi, v3
	v_cmp_eq_u32_e32 vcc, 0, v3
	s_and_saveexec_b64 s[4:5], vcc
	s_xor_b64 s[4:5], exec, s[4:5]
	s_cbranch_execz .LBB1_73
; %bb.72:
	v_mov_b32_e32 v3, 0
	v_mov_b32_e32 v4, s8
	global_atomic_smin v3, v4, s[22:23]
.LBB1_73:
	s_or_b64 exec, exec, s[2:3]
	v_cmp_eq_f32_e32 vcc, 0, v9
	s_and_b64 s[0:1], s[0:1], vcc
	s_and_b64 exec, exec, s[0:1]
	s_cbranch_execz .LBB1_78
; %bb.74:
	s_mov_b64 s[0:1], exec
	s_brev_b32 s2, -2
.LBB1_75:                               ; =>This Inner Loop Header: Depth=1
	s_ff1_i32_b64 s3, s[0:1]
	v_readlane_b32 s8, v2, s3
	s_lshl_b64 s[4:5], 1, s3
	s_min_i32 s2, s2, s8
	s_andn2_b64 s[0:1], s[0:1], s[4:5]
	s_cmp_lg_u64 s[0:1], 0
	s_cbranch_scc1 .LBB1_75
; %bb.76:
	v_mbcnt_lo_u32_b32 v2, exec_lo, 0
	v_mbcnt_hi_u32_b32 v2, exec_hi, v2
	v_cmp_eq_u32_e32 vcc, 0, v2
	s_and_saveexec_b64 s[0:1], vcc
	s_xor_b64 s[0:1], exec, s[0:1]
	s_cbranch_execz .LBB1_78
; %bb.77:
	v_mov_b32_e32 v2, 0
	v_mov_b32_e32 v3, s2
	global_atomic_smin v2, v3, s[20:21]
.LBB1_78:
	s_or_b64 exec, exec, s[6:7]
	v_cmp_eq_u32_e32 vcc, 0, v12
	s_waitcnt vmcnt(0)
	buffer_wbinvl1_vol
	s_and_b64 exec, exec, vcc
	s_cbranch_execz .LBB1_80
; %bb.79:
	v_mov_b32_e32 v2, s17
	v_add_co_u32_e32 v0, vcc, s16, v0
	v_addc_co_u32_e32 v1, vcc, v2, v1, vcc
	v_mov_b32_e32 v2, 1
	global_store_dword v[0:1], v2, off
.LBB1_80:
	s_endpgm
	.section	.rodata,"a",@progbits
	.p2align	6, 0x0
	.amdhsa_kernel _ZN9rocsparseL12csrilu0_hashILj256ELj32ELj1EfEEviPKiS2_PT2_S2_PiS2_S5_S5_d21rocsparse_index_base_imNS_24const_host_device_scalarIfEENS7_IdEENS7_IS3_EEb
		.amdhsa_group_segment_fixed_size 2048
		.amdhsa_private_segment_fixed_size 0
		.amdhsa_kernarg_size 124
		.amdhsa_user_sgpr_count 6
		.amdhsa_user_sgpr_private_segment_buffer 1
		.amdhsa_user_sgpr_dispatch_ptr 0
		.amdhsa_user_sgpr_queue_ptr 0
		.amdhsa_user_sgpr_kernarg_segment_ptr 1
		.amdhsa_user_sgpr_dispatch_id 0
		.amdhsa_user_sgpr_flat_scratch_init 0
		.amdhsa_user_sgpr_private_segment_size 0
		.amdhsa_uses_dynamic_stack 0
		.amdhsa_system_sgpr_private_segment_wavefront_offset 0
		.amdhsa_system_sgpr_workgroup_id_x 1
		.amdhsa_system_sgpr_workgroup_id_y 0
		.amdhsa_system_sgpr_workgroup_id_z 0
		.amdhsa_system_sgpr_workgroup_info 0
		.amdhsa_system_vgpr_workitem_id 0
		.amdhsa_next_free_vgpr 29
		.amdhsa_next_free_sgpr 62
		.amdhsa_reserve_vcc 1
		.amdhsa_reserve_flat_scratch 0
		.amdhsa_float_round_mode_32 0
		.amdhsa_float_round_mode_16_64 0
		.amdhsa_float_denorm_mode_32 3
		.amdhsa_float_denorm_mode_16_64 3
		.amdhsa_dx10_clamp 1
		.amdhsa_ieee_mode 1
		.amdhsa_fp16_overflow 0
		.amdhsa_exception_fp_ieee_invalid_op 0
		.amdhsa_exception_fp_denorm_src 0
		.amdhsa_exception_fp_ieee_div_zero 0
		.amdhsa_exception_fp_ieee_overflow 0
		.amdhsa_exception_fp_ieee_underflow 0
		.amdhsa_exception_fp_ieee_inexact 0
		.amdhsa_exception_int_div_zero 0
	.end_amdhsa_kernel
	.section	.text._ZN9rocsparseL12csrilu0_hashILj256ELj32ELj1EfEEviPKiS2_PT2_S2_PiS2_S5_S5_d21rocsparse_index_base_imNS_24const_host_device_scalarIfEENS7_IdEENS7_IS3_EEb,"axG",@progbits,_ZN9rocsparseL12csrilu0_hashILj256ELj32ELj1EfEEviPKiS2_PT2_S2_PiS2_S5_S5_d21rocsparse_index_base_imNS_24const_host_device_scalarIfEENS7_IdEENS7_IS3_EEb,comdat
.Lfunc_end1:
	.size	_ZN9rocsparseL12csrilu0_hashILj256ELj32ELj1EfEEviPKiS2_PT2_S2_PiS2_S5_S5_d21rocsparse_index_base_imNS_24const_host_device_scalarIfEENS7_IdEENS7_IS3_EEb, .Lfunc_end1-_ZN9rocsparseL12csrilu0_hashILj256ELj32ELj1EfEEviPKiS2_PT2_S2_PiS2_S5_S5_d21rocsparse_index_base_imNS_24const_host_device_scalarIfEENS7_IdEENS7_IS3_EEb
                                        ; -- End function
	.set _ZN9rocsparseL12csrilu0_hashILj256ELj32ELj1EfEEviPKiS2_PT2_S2_PiS2_S5_S5_d21rocsparse_index_base_imNS_24const_host_device_scalarIfEENS7_IdEENS7_IS3_EEb.num_vgpr, 29
	.set _ZN9rocsparseL12csrilu0_hashILj256ELj32ELj1EfEEviPKiS2_PT2_S2_PiS2_S5_S5_d21rocsparse_index_base_imNS_24const_host_device_scalarIfEENS7_IdEENS7_IS3_EEb.num_agpr, 0
	.set _ZN9rocsparseL12csrilu0_hashILj256ELj32ELj1EfEEviPKiS2_PT2_S2_PiS2_S5_S5_d21rocsparse_index_base_imNS_24const_host_device_scalarIfEENS7_IdEENS7_IS3_EEb.numbered_sgpr, 62
	.set _ZN9rocsparseL12csrilu0_hashILj256ELj32ELj1EfEEviPKiS2_PT2_S2_PiS2_S5_S5_d21rocsparse_index_base_imNS_24const_host_device_scalarIfEENS7_IdEENS7_IS3_EEb.num_named_barrier, 0
	.set _ZN9rocsparseL12csrilu0_hashILj256ELj32ELj1EfEEviPKiS2_PT2_S2_PiS2_S5_S5_d21rocsparse_index_base_imNS_24const_host_device_scalarIfEENS7_IdEENS7_IS3_EEb.private_seg_size, 0
	.set _ZN9rocsparseL12csrilu0_hashILj256ELj32ELj1EfEEviPKiS2_PT2_S2_PiS2_S5_S5_d21rocsparse_index_base_imNS_24const_host_device_scalarIfEENS7_IdEENS7_IS3_EEb.uses_vcc, 1
	.set _ZN9rocsparseL12csrilu0_hashILj256ELj32ELj1EfEEviPKiS2_PT2_S2_PiS2_S5_S5_d21rocsparse_index_base_imNS_24const_host_device_scalarIfEENS7_IdEENS7_IS3_EEb.uses_flat_scratch, 0
	.set _ZN9rocsparseL12csrilu0_hashILj256ELj32ELj1EfEEviPKiS2_PT2_S2_PiS2_S5_S5_d21rocsparse_index_base_imNS_24const_host_device_scalarIfEENS7_IdEENS7_IS3_EEb.has_dyn_sized_stack, 0
	.set _ZN9rocsparseL12csrilu0_hashILj256ELj32ELj1EfEEviPKiS2_PT2_S2_PiS2_S5_S5_d21rocsparse_index_base_imNS_24const_host_device_scalarIfEENS7_IdEENS7_IS3_EEb.has_recursion, 0
	.set _ZN9rocsparseL12csrilu0_hashILj256ELj32ELj1EfEEviPKiS2_PT2_S2_PiS2_S5_S5_d21rocsparse_index_base_imNS_24const_host_device_scalarIfEENS7_IdEENS7_IS3_EEb.has_indirect_call, 0
	.section	.AMDGPU.csdata,"",@progbits
; Kernel info:
; codeLenInByte = 2468
; TotalNumSgprs: 66
; NumVgprs: 29
; ScratchSize: 0
; MemoryBound: 0
; FloatMode: 240
; IeeeMode: 1
; LDSByteSize: 2048 bytes/workgroup (compile time only)
; SGPRBlocks: 8
; VGPRBlocks: 7
; NumSGPRsForWavesPerEU: 66
; NumVGPRsForWavesPerEU: 29
; Occupancy: 8
; WaveLimiterHint : 1
; COMPUTE_PGM_RSRC2:SCRATCH_EN: 0
; COMPUTE_PGM_RSRC2:USER_SGPR: 6
; COMPUTE_PGM_RSRC2:TRAP_HANDLER: 0
; COMPUTE_PGM_RSRC2:TGID_X_EN: 1
; COMPUTE_PGM_RSRC2:TGID_Y_EN: 0
; COMPUTE_PGM_RSRC2:TGID_Z_EN: 0
; COMPUTE_PGM_RSRC2:TIDIG_COMP_CNT: 0
	.section	.text._ZN9rocsparseL12csrilu0_hashILj256ELj32ELj2EfEEviPKiS2_PT2_S2_PiS2_S5_S5_d21rocsparse_index_base_imNS_24const_host_device_scalarIfEENS7_IdEENS7_IS3_EEb,"axG",@progbits,_ZN9rocsparseL12csrilu0_hashILj256ELj32ELj2EfEEviPKiS2_PT2_S2_PiS2_S5_S5_d21rocsparse_index_base_imNS_24const_host_device_scalarIfEENS7_IdEENS7_IS3_EEb,comdat
	.globl	_ZN9rocsparseL12csrilu0_hashILj256ELj32ELj2EfEEviPKiS2_PT2_S2_PiS2_S5_S5_d21rocsparse_index_base_imNS_24const_host_device_scalarIfEENS7_IdEENS7_IS3_EEb ; -- Begin function _ZN9rocsparseL12csrilu0_hashILj256ELj32ELj2EfEEviPKiS2_PT2_S2_PiS2_S5_S5_d21rocsparse_index_base_imNS_24const_host_device_scalarIfEENS7_IdEENS7_IS3_EEb
	.p2align	8
	.type	_ZN9rocsparseL12csrilu0_hashILj256ELj32ELj2EfEEviPKiS2_PT2_S2_PiS2_S5_S5_d21rocsparse_index_base_imNS_24const_host_device_scalarIfEENS7_IdEENS7_IS3_EEb,@function
_ZN9rocsparseL12csrilu0_hashILj256ELj32ELj2EfEEviPKiS2_PT2_S2_PiS2_S5_S5_d21rocsparse_index_base_imNS_24const_host_device_scalarIfEENS7_IdEENS7_IS3_EEb: ; @_ZN9rocsparseL12csrilu0_hashILj256ELj32ELj2EfEEviPKiS2_PT2_S2_PiS2_S5_S5_d21rocsparse_index_base_imNS_24const_host_device_scalarIfEENS7_IdEENS7_IS3_EEb
; %bb.0:
	s_load_dword s0, s[4:5], 0x78
	s_load_dwordx2 s[2:3], s[4:5], 0x50
	s_load_dwordx8 s[24:31], s[4:5], 0x58
	s_waitcnt lgkmcnt(0)
	s_bitcmp1_b32 s0, 0
	s_cselect_b64 s[0:1], -1, 0
	s_cmp_eq_u32 s3, 0
	s_cselect_b64 s[8:9], -1, 0
	s_cmp_lg_u32 s3, 0
	s_cselect_b64 s[34:35], -1, 0
	s_or_b64 s[0:1], s[8:9], s[0:1]
	s_xor_b64 s[10:11], s[0:1], -1
	s_and_b64 s[12:13], s[8:9], exec
	s_cselect_b32 s13, 0, s29
	s_cselect_b32 s12, 0, s28
	s_and_b64 vcc, exec, s[0:1]
	s_cbranch_vccnz .LBB2_2
; %bb.1:
	s_load_dword s0, s[26:27], 0x0
	s_mov_b64 s[12:13], s[28:29]
	s_waitcnt lgkmcnt(0)
	v_mov_b32_e32 v14, s0
	s_branch .LBB2_3
.LBB2_2:
	v_mov_b32_e32 v1, s26
	v_cndmask_b32_e64 v14, v1, 0, s[8:9]
.LBB2_3:
	v_cndmask_b32_e64 v1, 0, 1, s[10:11]
	v_mov_b32_e32 v3, s12
	v_cmp_ne_u32_e64 s[0:1], 1, v1
	s_andn2_b64 vcc, exec, s[10:11]
	v_mov_b32_e32 v4, s13
	s_cbranch_vccnz .LBB2_5
; %bb.4:
	v_mov_b32_e32 v1, s28
	v_mov_b32_e32 v2, s29
	flat_load_dwordx2 v[3:4], v[1:2]
.LBB2_5:
	s_and_b64 vcc, exec, s[0:1]
	s_cbranch_vccnz .LBB2_7
; %bb.6:
	s_load_dword s0, s[30:31], 0x0
	s_waitcnt lgkmcnt(0)
	v_mov_b32_e32 v15, s0
	s_branch .LBB2_8
.LBB2_7:
	v_mov_b32_e32 v1, s30
	v_cndmask_b32_e64 v15, v1, 0, s[8:9]
.LBB2_8:
	v_and_b32_e32 v13, 31, v0
	v_lshrrev_b32_e32 v1, 5, v0
	v_lshlrev_b32_e32 v5, 8, v1
	v_lshlrev_b32_e32 v6, 2, v13
	s_movk_i32 s0, 0x800
	v_or_b32_e32 v2, 0xffffffe0, v13
	v_or3_b32 v5, v5, v6, s0
	s_mov_b64 s[0:1], 0
	v_mov_b32_e32 v6, -1
.LBB2_9:                                ; =>This Inner Loop Header: Depth=1
	v_add_co_u32_e32 v2, vcc, 32, v2
	s_xor_b64 s[8:9], vcc, -1
	s_and_b64 s[8:9], exec, s[8:9]
	ds_write_b32 v5, v6
	s_or_b64 s[0:1], s[8:9], s[0:1]
	v_add_u32_e32 v5, 0x80, v5
	s_andn2_b64 exec, exec, s[0:1]
	s_cbranch_execnz .LBB2_9
; %bb.10:
	s_or_b64 exec, exec, s[0:1]
	s_load_dword s0, s[4:5], 0x0
	s_lshl_b32 s1, s6, 3
	s_and_b32 s1, s1, 0x7fffff8
	v_or_b32_e32 v1, s1, v1
	s_waitcnt lgkmcnt(0)
	v_cmp_gt_i32_e32 vcc, s0, v1
	s_and_saveexec_b64 s[0:1], vcc
	s_cbranch_execz .LBB2_82
; %bb.11:
	s_load_dwordx16 s[8:23], s[4:5], 0x8
	v_lshlrev_b32_e32 v1, 2, v1
	v_lshlrev_b32_e32 v0, 3, v0
	v_and_b32_e32 v0, 0x700, v0
	v_or_b32_e32 v16, 0x800, v0
	s_waitcnt lgkmcnt(0)
	global_load_dword v5, v1, s[18:19]
	v_mov_b32_e32 v7, s9
	v_mov_b32_e32 v10, s15
	s_waitcnt vmcnt(0)
	v_ashrrev_i32_e32 v6, 31, v5
	v_lshlrev_b64 v[1:2], 2, v[5:6]
	v_add_co_u32_e32 v6, vcc, s8, v1
	v_addc_co_u32_e32 v7, vcc, v7, v2, vcc
	global_load_dwordx2 v[7:8], v[6:7], off
	v_add_co_u32_e32 v9, vcc, s14, v1
	v_addc_co_u32_e32 v10, vcc, v10, v2, vcc
	global_load_dword v6, v[9:10], off
	s_waitcnt vmcnt(1)
	v_subrev_u32_e32 v7, s2, v7
	v_subrev_u32_e32 v10, s2, v8
	v_add_u32_e32 v8, v7, v13
	v_cmp_lt_i32_e32 vcc, v8, v10
	s_and_saveexec_b64 s[0:1], vcc
	s_cbranch_execz .LBB2_34
; %bb.12:
	s_mov_b64 s[6:7], 0
	v_mov_b32_e32 v11, s11
	v_mov_b32_e32 v12, -1
	s_branch .LBB2_14
.LBB2_13:                               ;   in Loop: Header=BB2_14 Depth=1
	s_or_b64 exec, exec, s[18:19]
	v_add_u32_e32 v8, 32, v8
	v_cmp_ge_i32_e32 vcc, v8, v10
	s_or_b64 s[6:7], vcc, s[6:7]
	s_andn2_b64 exec, exec, s[6:7]
	s_cbranch_execz .LBB2_34
.LBB2_14:                               ; =>This Loop Header: Depth=1
                                        ;     Child Loop BB2_23 Depth 2
	v_ashrrev_i32_e32 v9, 31, v8
	v_lshlrev_b64 v[17:18], 2, v[8:9]
	s_mov_b64 s[26:27], 0
	v_add_co_u32_e32 v17, vcc, s10, v17
	v_addc_co_u32_e32 v18, vcc, v11, v18, vcc
	global_load_dword v9, v[17:18], off
	v_mov_b32_e32 v17, 64
                                        ; implicit-def: $sgpr18_sgpr19
                                        ; implicit-def: $sgpr28_sgpr29
                                        ; implicit-def: $sgpr30_sgpr31
	s_waitcnt vmcnt(0)
	v_mul_lo_u32 v19, v9, 39
	s_branch .LBB2_23
.LBB2_15:                               ;   in Loop: Header=BB2_23 Depth=2
	s_or_b64 exec, exec, s[54:55]
	s_orn2_b64 s[50:51], s[50:51], exec
	s_orn2_b64 s[52:53], s[52:53], exec
.LBB2_16:                               ;   in Loop: Header=BB2_23 Depth=2
	s_or_b64 exec, exec, s[48:49]
	s_and_b64 s[50:51], s[50:51], exec
	s_orn2_b64 s[48:49], s[52:53], exec
.LBB2_17:                               ;   in Loop: Header=BB2_23 Depth=2
	s_or_b64 exec, exec, s[46:47]
	s_orn2_b64 s[50:51], s[50:51], exec
	s_orn2_b64 s[46:47], s[48:49], exec
.LBB2_18:                               ;   in Loop: Header=BB2_23 Depth=2
	s_or_b64 exec, exec, s[44:45]
	s_and_b64 s[48:49], s[50:51], exec
	s_orn2_b64 s[44:45], s[46:47], exec
.LBB2_19:                               ;   in Loop: Header=BB2_23 Depth=2
	s_or_b64 exec, exec, s[42:43]
	s_orn2_b64 s[42:43], s[48:49], exec
	s_orn2_b64 s[44:45], s[44:45], exec
.LBB2_20:                               ;   in Loop: Header=BB2_23 Depth=2
	s_or_b64 exec, exec, s[40:41]
	s_and_b64 s[42:43], s[42:43], exec
	s_orn2_b64 s[40:41], s[44:45], exec
.LBB2_21:                               ;   in Loop: Header=BB2_23 Depth=2
	s_or_b64 exec, exec, s[38:39]
	s_andn2_b64 s[30:31], s[30:31], exec
	s_and_b64 s[38:39], s[42:43], exec
	s_or_b64 s[30:31], s[30:31], s[38:39]
	s_andn2_b64 s[28:29], s[28:29], exec
	s_and_b64 s[38:39], s[40:41], exec
	s_or_b64 s[28:29], s[28:29], s[38:39]
.LBB2_22:                               ;   in Loop: Header=BB2_23 Depth=2
	s_or_b64 exec, exec, s[36:37]
	s_and_b64 s[36:37], exec, s[28:29]
	s_or_b64 s[26:27], s[36:37], s[26:27]
	s_andn2_b64 s[18:19], s[18:19], exec
	s_and_b64 s[36:37], s[30:31], exec
	s_or_b64 s[18:19], s[18:19], s[36:37]
	s_andn2_b64 exec, exec, s[26:27]
	s_cbranch_execz .LBB2_32
.LBB2_23:                               ;   Parent Loop BB2_14 Depth=1
                                        ; =>  This Inner Loop Header: Depth=2
	v_and_b32_e32 v18, 63, v19
	v_lshl_add_u32 v20, v18, 2, v16
	ds_read_b32 v21, v20
	s_or_b64 s[30:31], s[30:31], exec
	s_or_b64 s[28:29], s[28:29], exec
	s_waitcnt lgkmcnt(0)
	v_cmp_ne_u32_e32 vcc, v21, v9
	s_and_saveexec_b64 s[36:37], vcc
	s_cbranch_execz .LBB2_22
; %bb.24:                               ;   in Loop: Header=BB2_23 Depth=2
	ds_cmpst_rtn_b32 v20, v20, v12, v9
	s_mov_b64 s[40:41], -1
	s_mov_b64 s[42:43], 0
	s_waitcnt lgkmcnt(0)
	v_cmp_ne_u32_e32 vcc, -1, v20
	s_and_saveexec_b64 s[38:39], vcc
	s_cbranch_execz .LBB2_21
; %bb.25:                               ;   in Loop: Header=BB2_23 Depth=2
	v_add_u32_e32 v18, 1, v19
	v_and_b32_e32 v18, 63, v18
	v_lshl_add_u32 v20, v18, 2, v16
	ds_read_b32 v21, v20
	s_mov_b64 s[44:45], -1
	s_mov_b64 s[42:43], -1
	s_waitcnt lgkmcnt(0)
	v_cmp_ne_u32_e32 vcc, v21, v9
	s_and_saveexec_b64 s[40:41], vcc
	s_cbranch_execz .LBB2_20
; %bb.26:                               ;   in Loop: Header=BB2_23 Depth=2
	ds_cmpst_rtn_b32 v20, v20, v12, v9
	s_mov_b64 s[48:49], 0
	s_waitcnt lgkmcnt(0)
	v_cmp_ne_u32_e32 vcc, -1, v20
	s_and_saveexec_b64 s[42:43], vcc
	s_cbranch_execz .LBB2_19
; %bb.27:                               ;   in Loop: Header=BB2_23 Depth=2
	v_add_u32_e32 v18, 2, v19
	v_and_b32_e32 v18, 63, v18
	v_lshl_add_u32 v20, v18, 2, v16
	ds_read_b32 v21, v20
	s_mov_b64 s[46:47], -1
	s_mov_b64 s[50:51], -1
	s_waitcnt lgkmcnt(0)
	v_cmp_ne_u32_e32 vcc, v21, v9
	s_and_saveexec_b64 s[44:45], vcc
	s_cbranch_execz .LBB2_18
; %bb.28:                               ;   in Loop: Header=BB2_23 Depth=2
	ds_cmpst_rtn_b32 v20, v20, v12, v9
	s_mov_b64 s[48:49], -1
	s_mov_b64 s[50:51], 0
	s_waitcnt lgkmcnt(0)
	v_cmp_ne_u32_e32 vcc, -1, v20
	s_and_saveexec_b64 s[46:47], vcc
	s_cbranch_execz .LBB2_17
; %bb.29:                               ;   in Loop: Header=BB2_23 Depth=2
	v_add_u32_e32 v18, 3, v19
	v_and_b32_e32 v18, 63, v18
	v_lshl_add_u32 v20, v18, 2, v16
	ds_read_b32 v19, v20
	s_mov_b64 s[52:53], -1
	s_mov_b64 s[50:51], -1
	s_waitcnt lgkmcnt(0)
	v_cmp_ne_u32_e32 vcc, v19, v9
                                        ; implicit-def: $vgpr19
	s_and_saveexec_b64 s[48:49], vcc
	s_cbranch_execz .LBB2_16
; %bb.30:                               ;   in Loop: Header=BB2_23 Depth=2
	ds_cmpst_rtn_b32 v19, v20, v12, v9
	s_mov_b64 s[50:51], 0
	s_waitcnt lgkmcnt(0)
	v_cmp_ne_u32_e32 vcc, -1, v19
                                        ; implicit-def: $vgpr19
	s_and_saveexec_b64 s[54:55], vcc
	s_cbranch_execz .LBB2_15
; %bb.31:                               ;   in Loop: Header=BB2_23 Depth=2
	v_add_u32_e32 v17, -4, v17
	v_cmp_eq_u32_e32 vcc, 0, v17
	s_mov_b64 s[50:51], exec
	v_add_u32_e32 v19, 1, v18
	s_orn2_b64 s[52:53], vcc, exec
	s_branch .LBB2_15
.LBB2_32:                               ;   in Loop: Header=BB2_14 Depth=1
	s_or_b64 exec, exec, s[26:27]
	s_xor_b64 s[18:19], s[18:19], -1
	s_and_saveexec_b64 s[26:27], s[18:19]
	s_xor_b64 s[18:19], exec, s[26:27]
	s_cbranch_execz .LBB2_13
; %bb.33:                               ;   in Loop: Header=BB2_14 Depth=1
	v_lshl_add_u32 v9, v18, 2, v0
	ds_write_b32 v9, v8
	s_branch .LBB2_13
.LBB2_34:
	s_or_b64 exec, exec, s[0:1]
	s_waitcnt vmcnt(0)
	v_cmp_lt_i32_e32 vcc, v7, v6
	s_waitcnt lgkmcnt(0)
	s_and_saveexec_b64 s[0:1], vcc
	s_cbranch_execz .LBB2_64
; %bb.35:
	s_mov_b64 s[6:7], 0
	v_mov_b32_e32 v17, s11
	v_mov_b32_e32 v18, s13
	;; [unrolled: 1-line block ×5, first 2 shown]
	s_branch .LBB2_38
.LBB2_36:                               ;   in Loop: Header=BB2_38 Depth=1
	s_or_b64 exec, exec, s[26:27]
	v_add_u32_e32 v7, 1, v7
	v_cmp_ge_i32_e32 vcc, v7, v6
	s_orn2_b64 s[26:27], vcc, exec
.LBB2_37:                               ;   in Loop: Header=BB2_38 Depth=1
	s_or_b64 exec, exec, s[18:19]
	s_and_b64 s[18:19], exec, s[26:27]
	s_or_b64 s[6:7], s[18:19], s[6:7]
	s_andn2_b64 exec, exec, s[6:7]
	s_cbranch_execz .LBB2_64
.LBB2_38:                               ; =>This Loop Header: Depth=1
                                        ;     Child Loop BB2_39 Depth 2
                                        ;     Child Loop BB2_44 Depth 2
                                        ;       Child Loop BB2_53 Depth 3
	v_ashrrev_i32_e32 v8, 31, v7
	v_lshlrev_b64 v[9:10], 2, v[7:8]
	s_mov_b64 s[18:19], 0
	v_add_co_u32_e32 v11, vcc, s10, v9
	v_addc_co_u32_e32 v12, vcc, v17, v10, vcc
	global_load_dword v8, v[11:12], off
	v_add_co_u32_e32 v9, vcc, s12, v9
	v_addc_co_u32_e32 v10, vcc, v18, v10, vcc
	global_load_dword v23, v[9:10], off
	s_waitcnt vmcnt(1)
	v_subrev_u32_e32 v11, s2, v8
	v_ashrrev_i32_e32 v12, 31, v11
	v_lshlrev_b64 v[11:12], 2, v[11:12]
	v_add_co_u32_e32 v25, vcc, s8, v11
	v_addc_co_u32_e32 v26, vcc, v19, v12, vcc
	v_add_co_u32_e32 v27, vcc, s14, v11
	v_addc_co_u32_e32 v28, vcc, v20, v12, vcc
	global_load_dword v8, v[25:26], off offset:4
	global_load_dword v24, v[27:28], off
	v_add_co_u32_e32 v11, vcc, s16, v11
	v_addc_co_u32_e32 v12, vcc, v21, v12, vcc
.LBB2_39:                               ;   Parent Loop BB2_38 Depth=1
                                        ; =>  This Inner Loop Header: Depth=2
	global_load_dword v22, v[11:12], off glc
	s_waitcnt vmcnt(0)
	v_cmp_ne_u32_e32 vcc, 0, v22
	s_or_b64 s[18:19], vcc, s[18:19]
	s_andn2_b64 exec, exec, s[18:19]
	s_cbranch_execnz .LBB2_39
; %bb.40:                               ;   in Loop: Header=BB2_38 Depth=1
	s_or_b64 exec, exec, s[18:19]
	v_subrev_u32_e32 v22, s2, v8
	v_add_u32_e32 v8, -1, v22
	v_cmp_eq_u32_e32 vcc, -1, v24
	v_cndmask_b32_e32 v11, v24, v8, vcc
	v_ashrrev_i32_e32 v12, 31, v11
	v_lshlrev_b64 v[24:25], 2, v[11:12]
	buffer_wbinvl1_vol
	v_add_co_u32_e32 v24, vcc, s12, v24
	v_addc_co_u32_e32 v25, vcc, v18, v25, vcc
	global_load_dword v12, v[24:25], off
	s_mov_b64 s[26:27], -1
	s_waitcnt vmcnt(0)
	v_cmp_neq_f32_e32 vcc, 0, v12
	s_and_saveexec_b64 s[18:19], vcc
	s_cbranch_execz .LBB2_37
; %bb.41:                               ;   in Loop: Header=BB2_38 Depth=1
	v_div_scale_f32 v8, s[26:27], v12, v12, v23
	v_div_scale_f32 v24, vcc, v23, v12, v23
	v_rcp_f32_e32 v25, v8
	v_fma_f32 v26, -v8, v25, 1.0
	v_fmac_f32_e32 v25, v26, v25
	v_mul_f32_e32 v26, v24, v25
	v_fma_f32 v27, -v8, v26, v24
	v_fmac_f32_e32 v26, v27, v25
	v_fma_f32 v8, -v8, v26, v24
	v_div_fmas_f32 v24, v8, v25, v26
	v_add_u32_e32 v8, 1, v13
	v_add_u32_e32 v8, v8, v11
	v_cmp_lt_i32_e32 vcc, v8, v22
	v_div_fixup_f32 v11, v24, v12, v23
	global_store_dword v[9:10], v11, off
	s_and_saveexec_b64 s[26:27], vcc
	s_cbranch_execz .LBB2_36
; %bb.42:                               ;   in Loop: Header=BB2_38 Depth=1
	s_mov_b64 s[28:29], 0
	s_branch .LBB2_44
.LBB2_43:                               ;   in Loop: Header=BB2_44 Depth=2
	s_or_b64 exec, exec, s[30:31]
	v_add_u32_e32 v8, 32, v8
	v_cmp_ge_i32_e32 vcc, v8, v22
	s_or_b64 s[28:29], vcc, s[28:29]
	s_andn2_b64 exec, exec, s[28:29]
	s_cbranch_execz .LBB2_36
.LBB2_44:                               ;   Parent Loop BB2_38 Depth=1
                                        ; =>  This Loop Header: Depth=2
                                        ;       Child Loop BB2_53 Depth 3
	v_ashrrev_i32_e32 v9, 31, v8
	v_lshlrev_b64 v[9:10], 2, v[8:9]
	s_mov_b64 s[36:37], 0
	v_add_co_u32_e32 v23, vcc, s10, v9
	v_addc_co_u32_e32 v24, vcc, v17, v10, vcc
	global_load_dword v12, v[23:24], off
	v_mov_b32_e32 v23, 64
                                        ; implicit-def: $sgpr30_sgpr31
                                        ; implicit-def: $sgpr38_sgpr39
                                        ; implicit-def: $sgpr40_sgpr41
	s_waitcnt vmcnt(0)
	v_mul_lo_u32 v25, v12, 39
	s_branch .LBB2_53
.LBB2_45:                               ;   in Loop: Header=BB2_53 Depth=3
	s_or_b64 exec, exec, s[60:61]
	s_orn2_b64 s[56:57], s[56:57], exec
	s_orn2_b64 s[58:59], s[58:59], exec
.LBB2_46:                               ;   in Loop: Header=BB2_53 Depth=3
	s_or_b64 exec, exec, s[54:55]
	s_and_b64 s[56:57], s[56:57], exec
	s_orn2_b64 s[54:55], s[58:59], exec
.LBB2_47:                               ;   in Loop: Header=BB2_53 Depth=3
	s_or_b64 exec, exec, s[52:53]
	s_orn2_b64 s[56:57], s[56:57], exec
	s_orn2_b64 s[52:53], s[54:55], exec
.LBB2_48:                               ;   in Loop: Header=BB2_53 Depth=3
	s_or_b64 exec, exec, s[50:51]
	s_and_b64 s[54:55], s[56:57], exec
	s_orn2_b64 s[50:51], s[52:53], exec
.LBB2_49:                               ;   in Loop: Header=BB2_53 Depth=3
	s_or_b64 exec, exec, s[48:49]
	s_orn2_b64 s[48:49], s[54:55], exec
	s_orn2_b64 s[50:51], s[50:51], exec
.LBB2_50:                               ;   in Loop: Header=BB2_53 Depth=3
	s_or_b64 exec, exec, s[46:47]
	s_and_b64 s[48:49], s[48:49], exec
	s_orn2_b64 s[46:47], s[50:51], exec
.LBB2_51:                               ;   in Loop: Header=BB2_53 Depth=3
	s_or_b64 exec, exec, s[44:45]
	s_andn2_b64 s[40:41], s[40:41], exec
	s_and_b64 s[44:45], s[48:49], exec
	s_or_b64 s[40:41], s[40:41], s[44:45]
	s_andn2_b64 s[38:39], s[38:39], exec
	s_and_b64 s[44:45], s[46:47], exec
	s_or_b64 s[38:39], s[38:39], s[44:45]
.LBB2_52:                               ;   in Loop: Header=BB2_53 Depth=3
	s_or_b64 exec, exec, s[42:43]
	s_and_b64 s[42:43], exec, s[38:39]
	s_or_b64 s[36:37], s[42:43], s[36:37]
	s_andn2_b64 s[30:31], s[30:31], exec
	s_and_b64 s[42:43], s[40:41], exec
	s_or_b64 s[30:31], s[30:31], s[42:43]
	s_andn2_b64 exec, exec, s[36:37]
	s_cbranch_execz .LBB2_62
.LBB2_53:                               ;   Parent Loop BB2_38 Depth=1
                                        ;     Parent Loop BB2_44 Depth=2
                                        ; =>    This Inner Loop Header: Depth=3
	v_and_b32_e32 v24, 63, v25
	v_lshl_add_u32 v26, v24, 2, v16
	ds_read_b32 v26, v26
	s_or_b64 s[40:41], s[40:41], exec
	s_or_b64 s[38:39], s[38:39], exec
	s_waitcnt lgkmcnt(0)
	v_cmp_ne_u32_e32 vcc, -1, v26
	s_and_saveexec_b64 s[42:43], vcc
	s_cbranch_execz .LBB2_52
; %bb.54:                               ;   in Loop: Header=BB2_53 Depth=3
	v_cmp_ne_u32_e32 vcc, v26, v12
	s_mov_b64 s[46:47], -1
	s_mov_b64 s[48:49], 0
	s_and_saveexec_b64 s[44:45], vcc
	s_cbranch_execz .LBB2_51
; %bb.55:                               ;   in Loop: Header=BB2_53 Depth=3
	v_add_u32_e32 v24, 1, v25
	v_and_b32_e32 v24, 63, v24
	v_lshl_add_u32 v26, v24, 2, v16
	ds_read_b32 v26, v26
	s_mov_b64 s[50:51], -1
	s_mov_b64 s[48:49], -1
	s_waitcnt lgkmcnt(0)
	v_cmp_ne_u32_e32 vcc, -1, v26
	s_and_saveexec_b64 s[46:47], vcc
	s_cbranch_execz .LBB2_50
; %bb.56:                               ;   in Loop: Header=BB2_53 Depth=3
	v_cmp_ne_u32_e32 vcc, v26, v12
	s_mov_b64 s[54:55], 0
	s_and_saveexec_b64 s[48:49], vcc
	s_cbranch_execz .LBB2_49
; %bb.57:                               ;   in Loop: Header=BB2_53 Depth=3
	v_add_u32_e32 v24, 2, v25
	v_and_b32_e32 v24, 63, v24
	v_lshl_add_u32 v26, v24, 2, v16
	ds_read_b32 v26, v26
	s_mov_b64 s[52:53], -1
	s_mov_b64 s[56:57], -1
	s_waitcnt lgkmcnt(0)
	v_cmp_ne_u32_e32 vcc, -1, v26
	s_and_saveexec_b64 s[50:51], vcc
	s_cbranch_execz .LBB2_48
; %bb.58:                               ;   in Loop: Header=BB2_53 Depth=3
	v_cmp_ne_u32_e32 vcc, v26, v12
	s_mov_b64 s[54:55], -1
	s_mov_b64 s[56:57], 0
	s_and_saveexec_b64 s[52:53], vcc
	s_cbranch_execz .LBB2_47
; %bb.59:                               ;   in Loop: Header=BB2_53 Depth=3
	v_add_u32_e32 v24, 3, v25
	v_and_b32_e32 v24, 63, v24
	v_lshl_add_u32 v25, v24, 2, v16
	ds_read_b32 v26, v25
	s_mov_b64 s[58:59], -1
	s_mov_b64 s[56:57], -1
                                        ; implicit-def: $vgpr25
	s_waitcnt lgkmcnt(0)
	v_cmp_ne_u32_e32 vcc, -1, v26
	s_and_saveexec_b64 s[54:55], vcc
	s_cbranch_execz .LBB2_46
; %bb.60:                               ;   in Loop: Header=BB2_53 Depth=3
	v_cmp_ne_u32_e32 vcc, v26, v12
	s_mov_b64 s[56:57], 0
                                        ; implicit-def: $vgpr25
	s_and_saveexec_b64 s[60:61], vcc
	s_cbranch_execz .LBB2_45
; %bb.61:                               ;   in Loop: Header=BB2_53 Depth=3
	v_add_u32_e32 v23, -4, v23
	v_cmp_eq_u32_e32 vcc, 0, v23
	s_mov_b64 s[56:57], exec
	v_add_u32_e32 v25, 1, v24
	s_orn2_b64 s[58:59], vcc, exec
	s_branch .LBB2_45
.LBB2_62:                               ;   in Loop: Header=BB2_44 Depth=2
	s_or_b64 exec, exec, s[36:37]
	s_xor_b64 s[30:31], s[30:31], -1
	s_and_saveexec_b64 s[36:37], s[30:31]
	s_xor_b64 s[30:31], exec, s[36:37]
	s_cbranch_execz .LBB2_43
; %bb.63:                               ;   in Loop: Header=BB2_44 Depth=2
	v_lshl_add_u32 v12, v24, 2, v0
	ds_read_b32 v23, v12
	v_mov_b32_e32 v12, s13
	v_add_co_u32_e32 v9, vcc, s12, v9
	v_addc_co_u32_e32 v10, vcc, v12, v10, vcc
	s_waitcnt lgkmcnt(0)
	v_ashrrev_i32_e32 v24, 31, v23
	v_lshlrev_b64 v[23:24], 2, v[23:24]
	v_add_co_u32_e32 v23, vcc, s12, v23
	v_addc_co_u32_e32 v24, vcc, v12, v24, vcc
	global_load_dword v12, v[9:10], off
	global_load_dword v25, v[23:24], off
	s_waitcnt vmcnt(0)
	v_fma_f32 v9, -v11, v12, v25
	global_store_dword v[23:24], v9, off
	s_branch .LBB2_43
.LBB2_64:
	s_or_b64 exec, exec, s[0:1]
	v_cmp_lt_i32_e32 vcc, -1, v6
	s_and_saveexec_b64 s[6:7], vcc
	s_cbranch_execz .LBB2_80
; %bb.65:
	v_mov_b32_e32 v7, 0
	v_lshlrev_b64 v[6:7], 2, v[6:7]
	v_mov_b32_e32 v0, s13
	v_add_co_u32_e32 v8, vcc, s12, v6
	v_addc_co_u32_e32 v9, vcc, v0, v7, vcc
	global_load_dword v0, v[8:9], off
	v_cmp_eq_u32_e64 s[0:1], 0, v13
	s_mov_b64 s[8:9], -1
	s_waitcnt vmcnt(0)
	v_cmp_gt_f32_e32 vcc, 0, v0
	v_cndmask_b32_e64 v6, v0, -v0, vcc
	v_cvt_f64_f32_e32 v[6:7], v6
	s_andn2_b64 vcc, exec, s[34:35]
	s_cbranch_vccnz .LBB2_69
; %bb.66:
	v_cvt_f64_f32_e32 v[10:11], v14
	s_cmp_eq_u64 s[24:25], 8
	s_cselect_b64 vcc, -1, 0
	v_cndmask_b32_e32 v4, v11, v4, vcc
	v_cndmask_b32_e32 v3, v10, v3, vcc
	v_cmp_ge_f64_e32 vcc, v[3:4], v[6:7]
	s_and_b64 s[10:11], s[0:1], vcc
	s_and_saveexec_b64 s[8:9], s[10:11]
	s_cbranch_execz .LBB2_68
; %bb.67:
	global_store_dword v[8:9], v15, off
	s_waitcnt vmcnt(0)
	buffer_wbinvl1_vol
.LBB2_68:
	s_or_b64 exec, exec, s[8:9]
	s_mov_b64 s[8:9], 0
.LBB2_69:
	s_andn2_b64 vcc, exec, s[8:9]
	s_cbranch_vccnz .LBB2_80
; %bb.70:
	s_load_dwordx2 s[4:5], s[4:5], 0x48
	v_add_u32_e32 v3, s2, v5
	s_waitcnt lgkmcnt(0)
	v_cmp_ge_f64_e32 vcc, s[4:5], v[6:7]
	s_and_b64 s[4:5], s[0:1], vcc
	s_and_saveexec_b64 s[2:3], s[4:5]
	s_cbranch_execz .LBB2_75
; %bb.71:
	s_mov_b64 s[4:5], exec
	s_brev_b32 s8, -2
.LBB2_72:                               ; =>This Inner Loop Header: Depth=1
	s_ff1_i32_b64 s9, s[4:5]
	v_readlane_b32 s12, v3, s9
	s_lshl_b64 s[10:11], 1, s9
	s_min_i32 s8, s8, s12
	s_andn2_b64 s[4:5], s[4:5], s[10:11]
	s_cmp_lg_u64 s[4:5], 0
	s_cbranch_scc1 .LBB2_72
; %bb.73:
	v_mbcnt_lo_u32_b32 v4, exec_lo, 0
	v_mbcnt_hi_u32_b32 v4, exec_hi, v4
	v_cmp_eq_u32_e32 vcc, 0, v4
	s_and_saveexec_b64 s[4:5], vcc
	s_xor_b64 s[4:5], exec, s[4:5]
	s_cbranch_execz .LBB2_75
; %bb.74:
	v_mov_b32_e32 v4, 0
	v_mov_b32_e32 v5, s8
	global_atomic_smin v4, v5, s[22:23]
.LBB2_75:
	s_or_b64 exec, exec, s[2:3]
	v_cmp_eq_f32_e32 vcc, 0, v0
	s_and_b64 s[0:1], s[0:1], vcc
	s_and_b64 exec, exec, s[0:1]
	s_cbranch_execz .LBB2_80
; %bb.76:
	s_mov_b64 s[0:1], exec
	s_brev_b32 s2, -2
.LBB2_77:                               ; =>This Inner Loop Header: Depth=1
	s_ff1_i32_b64 s3, s[0:1]
	v_readlane_b32 s8, v3, s3
	s_lshl_b64 s[4:5], 1, s3
	s_min_i32 s2, s2, s8
	s_andn2_b64 s[0:1], s[0:1], s[4:5]
	s_cmp_lg_u64 s[0:1], 0
	s_cbranch_scc1 .LBB2_77
; %bb.78:
	v_mbcnt_lo_u32_b32 v0, exec_lo, 0
	v_mbcnt_hi_u32_b32 v0, exec_hi, v0
	v_cmp_eq_u32_e32 vcc, 0, v0
	s_and_saveexec_b64 s[0:1], vcc
	s_xor_b64 s[0:1], exec, s[0:1]
	s_cbranch_execz .LBB2_80
; %bb.79:
	v_mov_b32_e32 v0, 0
	v_mov_b32_e32 v3, s2
	global_atomic_smin v0, v3, s[20:21]
.LBB2_80:
	s_or_b64 exec, exec, s[6:7]
	v_cmp_eq_u32_e32 vcc, 0, v13
	s_waitcnt vmcnt(0)
	buffer_wbinvl1_vol
	s_and_b64 exec, exec, vcc
	s_cbranch_execz .LBB2_82
; %bb.81:
	v_mov_b32_e32 v3, s17
	v_add_co_u32_e32 v0, vcc, s16, v1
	v_addc_co_u32_e32 v1, vcc, v3, v2, vcc
	v_mov_b32_e32 v2, 1
	global_store_dword v[0:1], v2, off
.LBB2_82:
	s_endpgm
	.section	.rodata,"a",@progbits
	.p2align	6, 0x0
	.amdhsa_kernel _ZN9rocsparseL12csrilu0_hashILj256ELj32ELj2EfEEviPKiS2_PT2_S2_PiS2_S5_S5_d21rocsparse_index_base_imNS_24const_host_device_scalarIfEENS7_IdEENS7_IS3_EEb
		.amdhsa_group_segment_fixed_size 4096
		.amdhsa_private_segment_fixed_size 0
		.amdhsa_kernarg_size 124
		.amdhsa_user_sgpr_count 6
		.amdhsa_user_sgpr_private_segment_buffer 1
		.amdhsa_user_sgpr_dispatch_ptr 0
		.amdhsa_user_sgpr_queue_ptr 0
		.amdhsa_user_sgpr_kernarg_segment_ptr 1
		.amdhsa_user_sgpr_dispatch_id 0
		.amdhsa_user_sgpr_flat_scratch_init 0
		.amdhsa_user_sgpr_private_segment_size 0
		.amdhsa_uses_dynamic_stack 0
		.amdhsa_system_sgpr_private_segment_wavefront_offset 0
		.amdhsa_system_sgpr_workgroup_id_x 1
		.amdhsa_system_sgpr_workgroup_id_y 0
		.amdhsa_system_sgpr_workgroup_id_z 0
		.amdhsa_system_sgpr_workgroup_info 0
		.amdhsa_system_vgpr_workitem_id 0
		.amdhsa_next_free_vgpr 29
		.amdhsa_next_free_sgpr 62
		.amdhsa_reserve_vcc 1
		.amdhsa_reserve_flat_scratch 0
		.amdhsa_float_round_mode_32 0
		.amdhsa_float_round_mode_16_64 0
		.amdhsa_float_denorm_mode_32 3
		.amdhsa_float_denorm_mode_16_64 3
		.amdhsa_dx10_clamp 1
		.amdhsa_ieee_mode 1
		.amdhsa_fp16_overflow 0
		.amdhsa_exception_fp_ieee_invalid_op 0
		.amdhsa_exception_fp_denorm_src 0
		.amdhsa_exception_fp_ieee_div_zero 0
		.amdhsa_exception_fp_ieee_overflow 0
		.amdhsa_exception_fp_ieee_underflow 0
		.amdhsa_exception_fp_ieee_inexact 0
		.amdhsa_exception_int_div_zero 0
	.end_amdhsa_kernel
	.section	.text._ZN9rocsparseL12csrilu0_hashILj256ELj32ELj2EfEEviPKiS2_PT2_S2_PiS2_S5_S5_d21rocsparse_index_base_imNS_24const_host_device_scalarIfEENS7_IdEENS7_IS3_EEb,"axG",@progbits,_ZN9rocsparseL12csrilu0_hashILj256ELj32ELj2EfEEviPKiS2_PT2_S2_PiS2_S5_S5_d21rocsparse_index_base_imNS_24const_host_device_scalarIfEENS7_IdEENS7_IS3_EEb,comdat
.Lfunc_end2:
	.size	_ZN9rocsparseL12csrilu0_hashILj256ELj32ELj2EfEEviPKiS2_PT2_S2_PiS2_S5_S5_d21rocsparse_index_base_imNS_24const_host_device_scalarIfEENS7_IdEENS7_IS3_EEb, .Lfunc_end2-_ZN9rocsparseL12csrilu0_hashILj256ELj32ELj2EfEEviPKiS2_PT2_S2_PiS2_S5_S5_d21rocsparse_index_base_imNS_24const_host_device_scalarIfEENS7_IdEENS7_IS3_EEb
                                        ; -- End function
	.set _ZN9rocsparseL12csrilu0_hashILj256ELj32ELj2EfEEviPKiS2_PT2_S2_PiS2_S5_S5_d21rocsparse_index_base_imNS_24const_host_device_scalarIfEENS7_IdEENS7_IS3_EEb.num_vgpr, 29
	.set _ZN9rocsparseL12csrilu0_hashILj256ELj32ELj2EfEEviPKiS2_PT2_S2_PiS2_S5_S5_d21rocsparse_index_base_imNS_24const_host_device_scalarIfEENS7_IdEENS7_IS3_EEb.num_agpr, 0
	.set _ZN9rocsparseL12csrilu0_hashILj256ELj32ELj2EfEEviPKiS2_PT2_S2_PiS2_S5_S5_d21rocsparse_index_base_imNS_24const_host_device_scalarIfEENS7_IdEENS7_IS3_EEb.numbered_sgpr, 62
	.set _ZN9rocsparseL12csrilu0_hashILj256ELj32ELj2EfEEviPKiS2_PT2_S2_PiS2_S5_S5_d21rocsparse_index_base_imNS_24const_host_device_scalarIfEENS7_IdEENS7_IS3_EEb.num_named_barrier, 0
	.set _ZN9rocsparseL12csrilu0_hashILj256ELj32ELj2EfEEviPKiS2_PT2_S2_PiS2_S5_S5_d21rocsparse_index_base_imNS_24const_host_device_scalarIfEENS7_IdEENS7_IS3_EEb.private_seg_size, 0
	.set _ZN9rocsparseL12csrilu0_hashILj256ELj32ELj2EfEEviPKiS2_PT2_S2_PiS2_S5_S5_d21rocsparse_index_base_imNS_24const_host_device_scalarIfEENS7_IdEENS7_IS3_EEb.uses_vcc, 1
	.set _ZN9rocsparseL12csrilu0_hashILj256ELj32ELj2EfEEviPKiS2_PT2_S2_PiS2_S5_S5_d21rocsparse_index_base_imNS_24const_host_device_scalarIfEENS7_IdEENS7_IS3_EEb.uses_flat_scratch, 0
	.set _ZN9rocsparseL12csrilu0_hashILj256ELj32ELj2EfEEviPKiS2_PT2_S2_PiS2_S5_S5_d21rocsparse_index_base_imNS_24const_host_device_scalarIfEENS7_IdEENS7_IS3_EEb.has_dyn_sized_stack, 0
	.set _ZN9rocsparseL12csrilu0_hashILj256ELj32ELj2EfEEviPKiS2_PT2_S2_PiS2_S5_S5_d21rocsparse_index_base_imNS_24const_host_device_scalarIfEENS7_IdEENS7_IS3_EEb.has_recursion, 0
	.set _ZN9rocsparseL12csrilu0_hashILj256ELj32ELj2EfEEviPKiS2_PT2_S2_PiS2_S5_S5_d21rocsparse_index_base_imNS_24const_host_device_scalarIfEENS7_IdEENS7_IS3_EEb.has_indirect_call, 0
	.section	.AMDGPU.csdata,"",@progbits
; Kernel info:
; codeLenInByte = 2512
; TotalNumSgprs: 66
; NumVgprs: 29
; ScratchSize: 0
; MemoryBound: 0
; FloatMode: 240
; IeeeMode: 1
; LDSByteSize: 4096 bytes/workgroup (compile time only)
; SGPRBlocks: 8
; VGPRBlocks: 7
; NumSGPRsForWavesPerEU: 66
; NumVGPRsForWavesPerEU: 29
; Occupancy: 8
; WaveLimiterHint : 1
; COMPUTE_PGM_RSRC2:SCRATCH_EN: 0
; COMPUTE_PGM_RSRC2:USER_SGPR: 6
; COMPUTE_PGM_RSRC2:TRAP_HANDLER: 0
; COMPUTE_PGM_RSRC2:TGID_X_EN: 1
; COMPUTE_PGM_RSRC2:TGID_Y_EN: 0
; COMPUTE_PGM_RSRC2:TGID_Z_EN: 0
; COMPUTE_PGM_RSRC2:TIDIG_COMP_CNT: 0
	.section	.text._ZN9rocsparseL12csrilu0_hashILj256ELj32ELj4EfEEviPKiS2_PT2_S2_PiS2_S5_S5_d21rocsparse_index_base_imNS_24const_host_device_scalarIfEENS7_IdEENS7_IS3_EEb,"axG",@progbits,_ZN9rocsparseL12csrilu0_hashILj256ELj32ELj4EfEEviPKiS2_PT2_S2_PiS2_S5_S5_d21rocsparse_index_base_imNS_24const_host_device_scalarIfEENS7_IdEENS7_IS3_EEb,comdat
	.globl	_ZN9rocsparseL12csrilu0_hashILj256ELj32ELj4EfEEviPKiS2_PT2_S2_PiS2_S5_S5_d21rocsparse_index_base_imNS_24const_host_device_scalarIfEENS7_IdEENS7_IS3_EEb ; -- Begin function _ZN9rocsparseL12csrilu0_hashILj256ELj32ELj4EfEEviPKiS2_PT2_S2_PiS2_S5_S5_d21rocsparse_index_base_imNS_24const_host_device_scalarIfEENS7_IdEENS7_IS3_EEb
	.p2align	8
	.type	_ZN9rocsparseL12csrilu0_hashILj256ELj32ELj4EfEEviPKiS2_PT2_S2_PiS2_S5_S5_d21rocsparse_index_base_imNS_24const_host_device_scalarIfEENS7_IdEENS7_IS3_EEb,@function
_ZN9rocsparseL12csrilu0_hashILj256ELj32ELj4EfEEviPKiS2_PT2_S2_PiS2_S5_S5_d21rocsparse_index_base_imNS_24const_host_device_scalarIfEENS7_IdEENS7_IS3_EEb: ; @_ZN9rocsparseL12csrilu0_hashILj256ELj32ELj4EfEEviPKiS2_PT2_S2_PiS2_S5_S5_d21rocsparse_index_base_imNS_24const_host_device_scalarIfEENS7_IdEENS7_IS3_EEb
; %bb.0:
	s_load_dword s0, s[4:5], 0x78
	s_load_dwordx2 s[2:3], s[4:5], 0x50
	s_load_dwordx8 s[24:31], s[4:5], 0x58
	s_waitcnt lgkmcnt(0)
	s_bitcmp1_b32 s0, 0
	s_cselect_b64 s[0:1], -1, 0
	s_cmp_eq_u32 s3, 0
	s_cselect_b64 s[8:9], -1, 0
	s_cmp_lg_u32 s3, 0
	s_cselect_b64 s[34:35], -1, 0
	s_or_b64 s[0:1], s[8:9], s[0:1]
	s_xor_b64 s[10:11], s[0:1], -1
	s_and_b64 s[12:13], s[8:9], exec
	s_cselect_b32 s13, 0, s29
	s_cselect_b32 s12, 0, s28
	s_and_b64 vcc, exec, s[0:1]
	s_cbranch_vccnz .LBB3_2
; %bb.1:
	s_load_dword s0, s[26:27], 0x0
	s_mov_b64 s[12:13], s[28:29]
	s_waitcnt lgkmcnt(0)
	v_mov_b32_e32 v14, s0
	s_branch .LBB3_3
.LBB3_2:
	v_mov_b32_e32 v1, s26
	v_cndmask_b32_e64 v14, v1, 0, s[8:9]
.LBB3_3:
	v_cndmask_b32_e64 v1, 0, 1, s[10:11]
	v_mov_b32_e32 v3, s12
	v_cmp_ne_u32_e64 s[0:1], 1, v1
	s_andn2_b64 vcc, exec, s[10:11]
	v_mov_b32_e32 v4, s13
	s_cbranch_vccnz .LBB3_5
; %bb.4:
	v_mov_b32_e32 v1, s28
	v_mov_b32_e32 v2, s29
	flat_load_dwordx2 v[3:4], v[1:2]
.LBB3_5:
	s_and_b64 vcc, exec, s[0:1]
	s_cbranch_vccnz .LBB3_7
; %bb.6:
	s_load_dword s0, s[30:31], 0x0
	s_waitcnt lgkmcnt(0)
	v_mov_b32_e32 v15, s0
	s_branch .LBB3_8
.LBB3_7:
	v_mov_b32_e32 v1, s30
	v_cndmask_b32_e64 v15, v1, 0, s[8:9]
.LBB3_8:
	v_and_b32_e32 v13, 31, v0
	v_lshrrev_b32_e32 v1, 5, v0
	v_lshlrev_b32_e32 v5, 9, v1
	v_lshlrev_b32_e32 v6, 2, v13
	s_movk_i32 s0, 0x1000
	v_or_b32_e32 v2, 0xffffffe0, v13
	v_or3_b32 v5, v5, v6, s0
	s_mov_b64 s[0:1], 0
	v_mov_b32_e32 v6, -1
	s_movk_i32 s3, 0x5f
.LBB3_9:                                ; =>This Inner Loop Header: Depth=1
	v_add_u32_e32 v2, 32, v2
	v_cmp_lt_u32_e32 vcc, s3, v2
	ds_write_b32 v5, v6
	s_or_b64 s[0:1], vcc, s[0:1]
	v_add_u32_e32 v5, 0x80, v5
	s_andn2_b64 exec, exec, s[0:1]
	s_cbranch_execnz .LBB3_9
; %bb.10:
	s_or_b64 exec, exec, s[0:1]
	s_load_dword s0, s[4:5], 0x0
	s_lshl_b32 s1, s6, 3
	s_and_b32 s1, s1, 0x7fffff8
	v_or_b32_e32 v1, s1, v1
	s_waitcnt lgkmcnt(0)
	v_cmp_gt_i32_e32 vcc, s0, v1
	s_and_saveexec_b64 s[0:1], vcc
	s_cbranch_execz .LBB3_82
; %bb.11:
	s_load_dwordx16 s[8:23], s[4:5], 0x8
	v_lshlrev_b32_e32 v1, 2, v1
	v_lshlrev_b32_e32 v0, 4, v0
	v_and_b32_e32 v0, 0xe00, v0
	v_or_b32_e32 v16, 0x1000, v0
	s_waitcnt lgkmcnt(0)
	global_load_dword v5, v1, s[18:19]
	v_mov_b32_e32 v7, s9
	v_mov_b32_e32 v10, s15
	s_waitcnt vmcnt(0)
	v_ashrrev_i32_e32 v6, 31, v5
	v_lshlrev_b64 v[1:2], 2, v[5:6]
	v_add_co_u32_e32 v6, vcc, s8, v1
	v_addc_co_u32_e32 v7, vcc, v7, v2, vcc
	global_load_dwordx2 v[7:8], v[6:7], off
	v_add_co_u32_e32 v9, vcc, s14, v1
	v_addc_co_u32_e32 v10, vcc, v10, v2, vcc
	global_load_dword v6, v[9:10], off
	s_waitcnt vmcnt(1)
	v_subrev_u32_e32 v7, s2, v7
	v_subrev_u32_e32 v10, s2, v8
	v_add_u32_e32 v8, v7, v13
	v_cmp_lt_i32_e32 vcc, v8, v10
	s_and_saveexec_b64 s[0:1], vcc
	s_cbranch_execz .LBB3_34
; %bb.12:
	s_mov_b64 s[6:7], 0
	v_mov_b32_e32 v11, s11
	s_movk_i32 s3, 0x67
	v_mov_b32_e32 v12, -1
	s_branch .LBB3_14
.LBB3_13:                               ;   in Loop: Header=BB3_14 Depth=1
	s_or_b64 exec, exec, s[18:19]
	v_add_u32_e32 v8, 32, v8
	v_cmp_ge_i32_e32 vcc, v8, v10
	s_or_b64 s[6:7], vcc, s[6:7]
	s_andn2_b64 exec, exec, s[6:7]
	s_cbranch_execz .LBB3_34
.LBB3_14:                               ; =>This Loop Header: Depth=1
                                        ;     Child Loop BB3_23 Depth 2
	v_ashrrev_i32_e32 v9, 31, v8
	v_lshlrev_b64 v[17:18], 2, v[8:9]
	s_mov_b64 s[26:27], 0
	v_add_co_u32_e32 v17, vcc, s10, v17
	v_addc_co_u32_e32 v18, vcc, v11, v18, vcc
	global_load_dword v9, v[17:18], off
	v_mov_b32_e32 v17, 0x80
                                        ; implicit-def: $sgpr18_sgpr19
                                        ; implicit-def: $sgpr28_sgpr29
                                        ; implicit-def: $sgpr30_sgpr31
	s_waitcnt vmcnt(0)
	v_mul_lo_u32 v19, v9, s3
	s_branch .LBB3_23
.LBB3_15:                               ;   in Loop: Header=BB3_23 Depth=2
	s_or_b64 exec, exec, s[54:55]
	s_orn2_b64 s[50:51], s[50:51], exec
	s_orn2_b64 s[52:53], s[52:53], exec
.LBB3_16:                               ;   in Loop: Header=BB3_23 Depth=2
	s_or_b64 exec, exec, s[48:49]
	s_and_b64 s[50:51], s[50:51], exec
	s_orn2_b64 s[48:49], s[52:53], exec
.LBB3_17:                               ;   in Loop: Header=BB3_23 Depth=2
	s_or_b64 exec, exec, s[46:47]
	s_orn2_b64 s[50:51], s[50:51], exec
	s_orn2_b64 s[46:47], s[48:49], exec
.LBB3_18:                               ;   in Loop: Header=BB3_23 Depth=2
	s_or_b64 exec, exec, s[44:45]
	s_and_b64 s[48:49], s[50:51], exec
	s_orn2_b64 s[44:45], s[46:47], exec
.LBB3_19:                               ;   in Loop: Header=BB3_23 Depth=2
	s_or_b64 exec, exec, s[42:43]
	s_orn2_b64 s[42:43], s[48:49], exec
	s_orn2_b64 s[44:45], s[44:45], exec
.LBB3_20:                               ;   in Loop: Header=BB3_23 Depth=2
	s_or_b64 exec, exec, s[40:41]
	s_and_b64 s[42:43], s[42:43], exec
	s_orn2_b64 s[40:41], s[44:45], exec
.LBB3_21:                               ;   in Loop: Header=BB3_23 Depth=2
	s_or_b64 exec, exec, s[38:39]
	s_andn2_b64 s[30:31], s[30:31], exec
	s_and_b64 s[38:39], s[42:43], exec
	s_or_b64 s[30:31], s[30:31], s[38:39]
	s_andn2_b64 s[28:29], s[28:29], exec
	s_and_b64 s[38:39], s[40:41], exec
	s_or_b64 s[28:29], s[28:29], s[38:39]
.LBB3_22:                               ;   in Loop: Header=BB3_23 Depth=2
	s_or_b64 exec, exec, s[36:37]
	s_and_b64 s[36:37], exec, s[28:29]
	s_or_b64 s[26:27], s[36:37], s[26:27]
	s_andn2_b64 s[18:19], s[18:19], exec
	s_and_b64 s[36:37], s[30:31], exec
	s_or_b64 s[18:19], s[18:19], s[36:37]
	s_andn2_b64 exec, exec, s[26:27]
	s_cbranch_execz .LBB3_32
.LBB3_23:                               ;   Parent Loop BB3_14 Depth=1
                                        ; =>  This Inner Loop Header: Depth=2
	v_and_b32_e32 v18, 0x7f, v19
	v_lshl_add_u32 v20, v18, 2, v16
	ds_read_b32 v21, v20
	s_or_b64 s[30:31], s[30:31], exec
	s_or_b64 s[28:29], s[28:29], exec
	s_waitcnt lgkmcnt(0)
	v_cmp_ne_u32_e32 vcc, v21, v9
	s_and_saveexec_b64 s[36:37], vcc
	s_cbranch_execz .LBB3_22
; %bb.24:                               ;   in Loop: Header=BB3_23 Depth=2
	ds_cmpst_rtn_b32 v20, v20, v12, v9
	s_mov_b64 s[40:41], -1
	s_mov_b64 s[42:43], 0
	s_waitcnt lgkmcnt(0)
	v_cmp_ne_u32_e32 vcc, -1, v20
	s_and_saveexec_b64 s[38:39], vcc
	s_cbranch_execz .LBB3_21
; %bb.25:                               ;   in Loop: Header=BB3_23 Depth=2
	v_add_u32_e32 v18, 1, v19
	v_and_b32_e32 v18, 0x7f, v18
	v_lshl_add_u32 v20, v18, 2, v16
	ds_read_b32 v21, v20
	s_mov_b64 s[44:45], -1
	s_mov_b64 s[42:43], -1
	s_waitcnt lgkmcnt(0)
	v_cmp_ne_u32_e32 vcc, v21, v9
	s_and_saveexec_b64 s[40:41], vcc
	s_cbranch_execz .LBB3_20
; %bb.26:                               ;   in Loop: Header=BB3_23 Depth=2
	ds_cmpst_rtn_b32 v20, v20, v12, v9
	s_mov_b64 s[48:49], 0
	s_waitcnt lgkmcnt(0)
	v_cmp_ne_u32_e32 vcc, -1, v20
	s_and_saveexec_b64 s[42:43], vcc
	s_cbranch_execz .LBB3_19
; %bb.27:                               ;   in Loop: Header=BB3_23 Depth=2
	v_add_u32_e32 v18, 2, v19
	v_and_b32_e32 v18, 0x7f, v18
	v_lshl_add_u32 v20, v18, 2, v16
	ds_read_b32 v21, v20
	s_mov_b64 s[46:47], -1
	s_mov_b64 s[50:51], -1
	s_waitcnt lgkmcnt(0)
	v_cmp_ne_u32_e32 vcc, v21, v9
	s_and_saveexec_b64 s[44:45], vcc
	s_cbranch_execz .LBB3_18
; %bb.28:                               ;   in Loop: Header=BB3_23 Depth=2
	ds_cmpst_rtn_b32 v20, v20, v12, v9
	s_mov_b64 s[48:49], -1
	s_mov_b64 s[50:51], 0
	s_waitcnt lgkmcnt(0)
	v_cmp_ne_u32_e32 vcc, -1, v20
	s_and_saveexec_b64 s[46:47], vcc
	s_cbranch_execz .LBB3_17
; %bb.29:                               ;   in Loop: Header=BB3_23 Depth=2
	v_add_u32_e32 v18, 3, v19
	v_and_b32_e32 v18, 0x7f, v18
	v_lshl_add_u32 v20, v18, 2, v16
	ds_read_b32 v19, v20
	s_mov_b64 s[52:53], -1
	s_mov_b64 s[50:51], -1
	s_waitcnt lgkmcnt(0)
	v_cmp_ne_u32_e32 vcc, v19, v9
                                        ; implicit-def: $vgpr19
	s_and_saveexec_b64 s[48:49], vcc
	s_cbranch_execz .LBB3_16
; %bb.30:                               ;   in Loop: Header=BB3_23 Depth=2
	ds_cmpst_rtn_b32 v19, v20, v12, v9
	s_mov_b64 s[50:51], 0
	s_waitcnt lgkmcnt(0)
	v_cmp_ne_u32_e32 vcc, -1, v19
                                        ; implicit-def: $vgpr19
	s_and_saveexec_b64 s[54:55], vcc
	s_cbranch_execz .LBB3_15
; %bb.31:                               ;   in Loop: Header=BB3_23 Depth=2
	v_add_u32_e32 v17, -4, v17
	v_cmp_eq_u32_e32 vcc, 0, v17
	s_mov_b64 s[50:51], exec
	v_add_u32_e32 v19, 1, v18
	s_orn2_b64 s[52:53], vcc, exec
	s_branch .LBB3_15
.LBB3_32:                               ;   in Loop: Header=BB3_14 Depth=1
	s_or_b64 exec, exec, s[26:27]
	s_xor_b64 s[18:19], s[18:19], -1
	s_and_saveexec_b64 s[26:27], s[18:19]
	s_xor_b64 s[18:19], exec, s[26:27]
	s_cbranch_execz .LBB3_13
; %bb.33:                               ;   in Loop: Header=BB3_14 Depth=1
	v_lshl_add_u32 v9, v18, 2, v0
	ds_write_b32 v9, v8
	s_branch .LBB3_13
.LBB3_34:
	s_or_b64 exec, exec, s[0:1]
	s_waitcnt vmcnt(0)
	v_cmp_lt_i32_e32 vcc, v7, v6
	s_waitcnt lgkmcnt(0)
	s_and_saveexec_b64 s[0:1], vcc
	s_cbranch_execz .LBB3_64
; %bb.35:
	v_add_u32_e32 v17, 1, v13
	s_mov_b64 s[6:7], 0
	v_mov_b32_e32 v18, s11
	v_mov_b32_e32 v19, s13
	;; [unrolled: 1-line block ×5, first 2 shown]
	s_movk_i32 s3, 0x67
	s_branch .LBB3_38
.LBB3_36:                               ;   in Loop: Header=BB3_38 Depth=1
	s_or_b64 exec, exec, s[26:27]
	v_add_u32_e32 v7, 1, v7
	v_cmp_ge_i32_e32 vcc, v7, v6
	s_orn2_b64 s[26:27], vcc, exec
.LBB3_37:                               ;   in Loop: Header=BB3_38 Depth=1
	s_or_b64 exec, exec, s[18:19]
	s_and_b64 s[18:19], exec, s[26:27]
	s_or_b64 s[6:7], s[18:19], s[6:7]
	s_andn2_b64 exec, exec, s[6:7]
	s_cbranch_execz .LBB3_64
.LBB3_38:                               ; =>This Loop Header: Depth=1
                                        ;     Child Loop BB3_39 Depth 2
                                        ;     Child Loop BB3_44 Depth 2
                                        ;       Child Loop BB3_53 Depth 3
	v_ashrrev_i32_e32 v8, 31, v7
	v_lshlrev_b64 v[9:10], 2, v[7:8]
	s_mov_b64 s[18:19], 0
	v_add_co_u32_e32 v11, vcc, s10, v9
	v_addc_co_u32_e32 v12, vcc, v18, v10, vcc
	global_load_dword v8, v[11:12], off
	v_add_co_u32_e32 v9, vcc, s12, v9
	v_addc_co_u32_e32 v10, vcc, v19, v10, vcc
	global_load_dword v24, v[9:10], off
	s_waitcnt vmcnt(1)
	v_subrev_u32_e32 v11, s2, v8
	v_ashrrev_i32_e32 v12, 31, v11
	v_lshlrev_b64 v[11:12], 2, v[11:12]
	v_add_co_u32_e32 v26, vcc, s8, v11
	v_addc_co_u32_e32 v27, vcc, v20, v12, vcc
	v_add_co_u32_e32 v28, vcc, s14, v11
	v_addc_co_u32_e32 v29, vcc, v21, v12, vcc
	global_load_dword v8, v[26:27], off offset:4
	global_load_dword v25, v[28:29], off
	v_add_co_u32_e32 v11, vcc, s16, v11
	v_addc_co_u32_e32 v12, vcc, v22, v12, vcc
.LBB3_39:                               ;   Parent Loop BB3_38 Depth=1
                                        ; =>  This Inner Loop Header: Depth=2
	global_load_dword v23, v[11:12], off glc
	s_waitcnt vmcnt(0)
	v_cmp_ne_u32_e32 vcc, 0, v23
	s_or_b64 s[18:19], vcc, s[18:19]
	s_andn2_b64 exec, exec, s[18:19]
	s_cbranch_execnz .LBB3_39
; %bb.40:                               ;   in Loop: Header=BB3_38 Depth=1
	s_or_b64 exec, exec, s[18:19]
	v_subrev_u32_e32 v23, s2, v8
	v_add_u32_e32 v8, -1, v23
	v_cmp_eq_u32_e32 vcc, -1, v25
	v_cndmask_b32_e32 v11, v25, v8, vcc
	v_ashrrev_i32_e32 v12, 31, v11
	v_lshlrev_b64 v[25:26], 2, v[11:12]
	buffer_wbinvl1_vol
	v_add_co_u32_e32 v25, vcc, s12, v25
	v_addc_co_u32_e32 v26, vcc, v19, v26, vcc
	global_load_dword v12, v[25:26], off
	s_mov_b64 s[26:27], -1
	s_waitcnt vmcnt(0)
	v_cmp_neq_f32_e32 vcc, 0, v12
	s_and_saveexec_b64 s[18:19], vcc
	s_cbranch_execz .LBB3_37
; %bb.41:                               ;   in Loop: Header=BB3_38 Depth=1
	v_div_scale_f32 v8, s[26:27], v12, v12, v24
	v_div_scale_f32 v25, vcc, v24, v12, v24
	v_rcp_f32_e32 v26, v8
	v_fma_f32 v27, -v8, v26, 1.0
	v_fmac_f32_e32 v26, v27, v26
	v_mul_f32_e32 v27, v25, v26
	v_fma_f32 v28, -v8, v27, v25
	v_fmac_f32_e32 v27, v28, v26
	v_fma_f32 v8, -v8, v27, v25
	v_div_fmas_f32 v25, v8, v26, v27
	v_add_u32_e32 v8, v17, v11
	v_cmp_lt_i32_e32 vcc, v8, v23
	v_div_fixup_f32 v11, v25, v12, v24
	global_store_dword v[9:10], v11, off
	s_and_saveexec_b64 s[26:27], vcc
	s_cbranch_execz .LBB3_36
; %bb.42:                               ;   in Loop: Header=BB3_38 Depth=1
	s_mov_b64 s[28:29], 0
	s_branch .LBB3_44
.LBB3_43:                               ;   in Loop: Header=BB3_44 Depth=2
	s_or_b64 exec, exec, s[30:31]
	v_add_u32_e32 v8, 32, v8
	v_cmp_ge_i32_e32 vcc, v8, v23
	s_or_b64 s[28:29], vcc, s[28:29]
	s_andn2_b64 exec, exec, s[28:29]
	s_cbranch_execz .LBB3_36
.LBB3_44:                               ;   Parent Loop BB3_38 Depth=1
                                        ; =>  This Loop Header: Depth=2
                                        ;       Child Loop BB3_53 Depth 3
	v_ashrrev_i32_e32 v9, 31, v8
	v_lshlrev_b64 v[9:10], 2, v[8:9]
	s_mov_b64 s[36:37], 0
	v_add_co_u32_e32 v24, vcc, s10, v9
	v_addc_co_u32_e32 v25, vcc, v18, v10, vcc
	global_load_dword v12, v[24:25], off
	v_mov_b32_e32 v24, 0x80
                                        ; implicit-def: $sgpr30_sgpr31
                                        ; implicit-def: $sgpr38_sgpr39
                                        ; implicit-def: $sgpr40_sgpr41
	s_waitcnt vmcnt(0)
	v_mul_lo_u32 v26, v12, s3
	s_branch .LBB3_53
.LBB3_45:                               ;   in Loop: Header=BB3_53 Depth=3
	s_or_b64 exec, exec, s[60:61]
	s_orn2_b64 s[56:57], s[56:57], exec
	s_orn2_b64 s[58:59], s[58:59], exec
.LBB3_46:                               ;   in Loop: Header=BB3_53 Depth=3
	s_or_b64 exec, exec, s[54:55]
	s_and_b64 s[56:57], s[56:57], exec
	s_orn2_b64 s[54:55], s[58:59], exec
.LBB3_47:                               ;   in Loop: Header=BB3_53 Depth=3
	s_or_b64 exec, exec, s[52:53]
	s_orn2_b64 s[56:57], s[56:57], exec
	s_orn2_b64 s[52:53], s[54:55], exec
.LBB3_48:                               ;   in Loop: Header=BB3_53 Depth=3
	s_or_b64 exec, exec, s[50:51]
	s_and_b64 s[54:55], s[56:57], exec
	s_orn2_b64 s[50:51], s[52:53], exec
.LBB3_49:                               ;   in Loop: Header=BB3_53 Depth=3
	s_or_b64 exec, exec, s[48:49]
	s_orn2_b64 s[48:49], s[54:55], exec
	s_orn2_b64 s[50:51], s[50:51], exec
.LBB3_50:                               ;   in Loop: Header=BB3_53 Depth=3
	s_or_b64 exec, exec, s[46:47]
	s_and_b64 s[48:49], s[48:49], exec
	s_orn2_b64 s[46:47], s[50:51], exec
.LBB3_51:                               ;   in Loop: Header=BB3_53 Depth=3
	s_or_b64 exec, exec, s[44:45]
	s_andn2_b64 s[40:41], s[40:41], exec
	s_and_b64 s[44:45], s[48:49], exec
	s_or_b64 s[40:41], s[40:41], s[44:45]
	s_andn2_b64 s[38:39], s[38:39], exec
	s_and_b64 s[44:45], s[46:47], exec
	s_or_b64 s[38:39], s[38:39], s[44:45]
.LBB3_52:                               ;   in Loop: Header=BB3_53 Depth=3
	s_or_b64 exec, exec, s[42:43]
	s_and_b64 s[42:43], exec, s[38:39]
	s_or_b64 s[36:37], s[42:43], s[36:37]
	s_andn2_b64 s[30:31], s[30:31], exec
	s_and_b64 s[42:43], s[40:41], exec
	s_or_b64 s[30:31], s[30:31], s[42:43]
	s_andn2_b64 exec, exec, s[36:37]
	s_cbranch_execz .LBB3_62
.LBB3_53:                               ;   Parent Loop BB3_38 Depth=1
                                        ;     Parent Loop BB3_44 Depth=2
                                        ; =>    This Inner Loop Header: Depth=3
	v_and_b32_e32 v25, 0x7f, v26
	v_lshl_add_u32 v27, v25, 2, v16
	ds_read_b32 v27, v27
	s_or_b64 s[40:41], s[40:41], exec
	s_or_b64 s[38:39], s[38:39], exec
	s_waitcnt lgkmcnt(0)
	v_cmp_ne_u32_e32 vcc, -1, v27
	s_and_saveexec_b64 s[42:43], vcc
	s_cbranch_execz .LBB3_52
; %bb.54:                               ;   in Loop: Header=BB3_53 Depth=3
	v_cmp_ne_u32_e32 vcc, v27, v12
	s_mov_b64 s[46:47], -1
	s_mov_b64 s[48:49], 0
	s_and_saveexec_b64 s[44:45], vcc
	s_cbranch_execz .LBB3_51
; %bb.55:                               ;   in Loop: Header=BB3_53 Depth=3
	v_add_u32_e32 v25, 1, v26
	v_and_b32_e32 v25, 0x7f, v25
	v_lshl_add_u32 v27, v25, 2, v16
	ds_read_b32 v27, v27
	s_mov_b64 s[50:51], -1
	s_mov_b64 s[48:49], -1
	s_waitcnt lgkmcnt(0)
	v_cmp_ne_u32_e32 vcc, -1, v27
	s_and_saveexec_b64 s[46:47], vcc
	s_cbranch_execz .LBB3_50
; %bb.56:                               ;   in Loop: Header=BB3_53 Depth=3
	v_cmp_ne_u32_e32 vcc, v27, v12
	s_mov_b64 s[54:55], 0
	s_and_saveexec_b64 s[48:49], vcc
	s_cbranch_execz .LBB3_49
; %bb.57:                               ;   in Loop: Header=BB3_53 Depth=3
	v_add_u32_e32 v25, 2, v26
	v_and_b32_e32 v25, 0x7f, v25
	v_lshl_add_u32 v27, v25, 2, v16
	ds_read_b32 v27, v27
	s_mov_b64 s[52:53], -1
	s_mov_b64 s[56:57], -1
	s_waitcnt lgkmcnt(0)
	v_cmp_ne_u32_e32 vcc, -1, v27
	s_and_saveexec_b64 s[50:51], vcc
	s_cbranch_execz .LBB3_48
; %bb.58:                               ;   in Loop: Header=BB3_53 Depth=3
	v_cmp_ne_u32_e32 vcc, v27, v12
	s_mov_b64 s[54:55], -1
	s_mov_b64 s[56:57], 0
	s_and_saveexec_b64 s[52:53], vcc
	s_cbranch_execz .LBB3_47
; %bb.59:                               ;   in Loop: Header=BB3_53 Depth=3
	v_add_u32_e32 v25, 3, v26
	v_and_b32_e32 v25, 0x7f, v25
	v_lshl_add_u32 v26, v25, 2, v16
	ds_read_b32 v27, v26
	s_mov_b64 s[58:59], -1
	s_mov_b64 s[56:57], -1
                                        ; implicit-def: $vgpr26
	s_waitcnt lgkmcnt(0)
	v_cmp_ne_u32_e32 vcc, -1, v27
	s_and_saveexec_b64 s[54:55], vcc
	s_cbranch_execz .LBB3_46
; %bb.60:                               ;   in Loop: Header=BB3_53 Depth=3
	v_cmp_ne_u32_e32 vcc, v27, v12
	s_mov_b64 s[56:57], 0
                                        ; implicit-def: $vgpr26
	s_and_saveexec_b64 s[60:61], vcc
	s_cbranch_execz .LBB3_45
; %bb.61:                               ;   in Loop: Header=BB3_53 Depth=3
	v_add_u32_e32 v24, -4, v24
	v_cmp_eq_u32_e32 vcc, 0, v24
	s_mov_b64 s[56:57], exec
	v_add_u32_e32 v26, 1, v25
	s_orn2_b64 s[58:59], vcc, exec
	s_branch .LBB3_45
.LBB3_62:                               ;   in Loop: Header=BB3_44 Depth=2
	s_or_b64 exec, exec, s[36:37]
	s_xor_b64 s[30:31], s[30:31], -1
	s_and_saveexec_b64 s[36:37], s[30:31]
	s_xor_b64 s[30:31], exec, s[36:37]
	s_cbranch_execz .LBB3_43
; %bb.63:                               ;   in Loop: Header=BB3_44 Depth=2
	v_lshl_add_u32 v12, v25, 2, v0
	ds_read_b32 v24, v12
	v_add_co_u32_e32 v9, vcc, s12, v9
	v_addc_co_u32_e32 v10, vcc, v19, v10, vcc
	s_waitcnt lgkmcnt(0)
	v_ashrrev_i32_e32 v25, 31, v24
	v_lshlrev_b64 v[24:25], 2, v[24:25]
	v_add_co_u32_e32 v24, vcc, s12, v24
	v_addc_co_u32_e32 v25, vcc, v19, v25, vcc
	global_load_dword v12, v[9:10], off
	global_load_dword v26, v[24:25], off
	s_waitcnt vmcnt(0)
	v_fma_f32 v9, -v11, v12, v26
	global_store_dword v[24:25], v9, off
	s_branch .LBB3_43
.LBB3_64:
	s_or_b64 exec, exec, s[0:1]
	v_cmp_lt_i32_e32 vcc, -1, v6
	s_and_saveexec_b64 s[6:7], vcc
	s_cbranch_execz .LBB3_80
; %bb.65:
	v_mov_b32_e32 v7, 0
	v_lshlrev_b64 v[6:7], 2, v[6:7]
	v_mov_b32_e32 v0, s13
	v_add_co_u32_e32 v8, vcc, s12, v6
	v_addc_co_u32_e32 v9, vcc, v0, v7, vcc
	global_load_dword v0, v[8:9], off
	v_cmp_eq_u32_e64 s[0:1], 0, v13
	s_mov_b64 s[8:9], -1
	s_waitcnt vmcnt(0)
	v_cmp_gt_f32_e32 vcc, 0, v0
	v_cndmask_b32_e64 v6, v0, -v0, vcc
	v_cvt_f64_f32_e32 v[6:7], v6
	s_andn2_b64 vcc, exec, s[34:35]
	s_cbranch_vccnz .LBB3_69
; %bb.66:
	v_cvt_f64_f32_e32 v[10:11], v14
	s_cmp_eq_u64 s[24:25], 8
	s_cselect_b64 vcc, -1, 0
	v_cndmask_b32_e32 v4, v11, v4, vcc
	v_cndmask_b32_e32 v3, v10, v3, vcc
	v_cmp_ge_f64_e32 vcc, v[3:4], v[6:7]
	s_and_b64 s[10:11], s[0:1], vcc
	s_and_saveexec_b64 s[8:9], s[10:11]
	s_cbranch_execz .LBB3_68
; %bb.67:
	global_store_dword v[8:9], v15, off
	s_waitcnt vmcnt(0)
	buffer_wbinvl1_vol
.LBB3_68:
	s_or_b64 exec, exec, s[8:9]
	s_mov_b64 s[8:9], 0
.LBB3_69:
	s_andn2_b64 vcc, exec, s[8:9]
	s_cbranch_vccnz .LBB3_80
; %bb.70:
	s_load_dwordx2 s[4:5], s[4:5], 0x48
	v_add_u32_e32 v3, s2, v5
	s_waitcnt lgkmcnt(0)
	v_cmp_ge_f64_e32 vcc, s[4:5], v[6:7]
	s_and_b64 s[4:5], s[0:1], vcc
	s_and_saveexec_b64 s[2:3], s[4:5]
	s_cbranch_execz .LBB3_75
; %bb.71:
	s_mov_b64 s[4:5], exec
	s_brev_b32 s8, -2
.LBB3_72:                               ; =>This Inner Loop Header: Depth=1
	s_ff1_i32_b64 s9, s[4:5]
	v_readlane_b32 s12, v3, s9
	s_lshl_b64 s[10:11], 1, s9
	s_min_i32 s8, s8, s12
	s_andn2_b64 s[4:5], s[4:5], s[10:11]
	s_cmp_lg_u64 s[4:5], 0
	s_cbranch_scc1 .LBB3_72
; %bb.73:
	v_mbcnt_lo_u32_b32 v4, exec_lo, 0
	v_mbcnt_hi_u32_b32 v4, exec_hi, v4
	v_cmp_eq_u32_e32 vcc, 0, v4
	s_and_saveexec_b64 s[4:5], vcc
	s_xor_b64 s[4:5], exec, s[4:5]
	s_cbranch_execz .LBB3_75
; %bb.74:
	v_mov_b32_e32 v4, 0
	v_mov_b32_e32 v5, s8
	global_atomic_smin v4, v5, s[22:23]
.LBB3_75:
	s_or_b64 exec, exec, s[2:3]
	v_cmp_eq_f32_e32 vcc, 0, v0
	s_and_b64 s[0:1], s[0:1], vcc
	s_and_b64 exec, exec, s[0:1]
	s_cbranch_execz .LBB3_80
; %bb.76:
	s_mov_b64 s[0:1], exec
	s_brev_b32 s2, -2
.LBB3_77:                               ; =>This Inner Loop Header: Depth=1
	s_ff1_i32_b64 s3, s[0:1]
	v_readlane_b32 s8, v3, s3
	s_lshl_b64 s[4:5], 1, s3
	s_min_i32 s2, s2, s8
	s_andn2_b64 s[0:1], s[0:1], s[4:5]
	s_cmp_lg_u64 s[0:1], 0
	s_cbranch_scc1 .LBB3_77
; %bb.78:
	v_mbcnt_lo_u32_b32 v0, exec_lo, 0
	v_mbcnt_hi_u32_b32 v0, exec_hi, v0
	v_cmp_eq_u32_e32 vcc, 0, v0
	s_and_saveexec_b64 s[0:1], vcc
	s_xor_b64 s[0:1], exec, s[0:1]
	s_cbranch_execz .LBB3_80
; %bb.79:
	v_mov_b32_e32 v0, 0
	v_mov_b32_e32 v3, s2
	global_atomic_smin v0, v3, s[20:21]
.LBB3_80:
	s_or_b64 exec, exec, s[6:7]
	v_cmp_eq_u32_e32 vcc, 0, v13
	s_waitcnt vmcnt(0)
	buffer_wbinvl1_vol
	s_and_b64 exec, exec, vcc
	s_cbranch_execz .LBB3_82
; %bb.81:
	v_mov_b32_e32 v3, s17
	v_add_co_u32_e32 v0, vcc, s16, v1
	v_addc_co_u32_e32 v1, vcc, v3, v2, vcc
	v_mov_b32_e32 v2, 1
	global_store_dword v[0:1], v2, off
.LBB3_82:
	s_endpgm
	.section	.rodata,"a",@progbits
	.p2align	6, 0x0
	.amdhsa_kernel _ZN9rocsparseL12csrilu0_hashILj256ELj32ELj4EfEEviPKiS2_PT2_S2_PiS2_S5_S5_d21rocsparse_index_base_imNS_24const_host_device_scalarIfEENS7_IdEENS7_IS3_EEb
		.amdhsa_group_segment_fixed_size 8192
		.amdhsa_private_segment_fixed_size 0
		.amdhsa_kernarg_size 124
		.amdhsa_user_sgpr_count 6
		.amdhsa_user_sgpr_private_segment_buffer 1
		.amdhsa_user_sgpr_dispatch_ptr 0
		.amdhsa_user_sgpr_queue_ptr 0
		.amdhsa_user_sgpr_kernarg_segment_ptr 1
		.amdhsa_user_sgpr_dispatch_id 0
		.amdhsa_user_sgpr_flat_scratch_init 0
		.amdhsa_user_sgpr_private_segment_size 0
		.amdhsa_uses_dynamic_stack 0
		.amdhsa_system_sgpr_private_segment_wavefront_offset 0
		.amdhsa_system_sgpr_workgroup_id_x 1
		.amdhsa_system_sgpr_workgroup_id_y 0
		.amdhsa_system_sgpr_workgroup_id_z 0
		.amdhsa_system_sgpr_workgroup_info 0
		.amdhsa_system_vgpr_workitem_id 0
		.amdhsa_next_free_vgpr 30
		.amdhsa_next_free_sgpr 62
		.amdhsa_reserve_vcc 1
		.amdhsa_reserve_flat_scratch 0
		.amdhsa_float_round_mode_32 0
		.amdhsa_float_round_mode_16_64 0
		.amdhsa_float_denorm_mode_32 3
		.amdhsa_float_denorm_mode_16_64 3
		.amdhsa_dx10_clamp 1
		.amdhsa_ieee_mode 1
		.amdhsa_fp16_overflow 0
		.amdhsa_exception_fp_ieee_invalid_op 0
		.amdhsa_exception_fp_denorm_src 0
		.amdhsa_exception_fp_ieee_div_zero 0
		.amdhsa_exception_fp_ieee_overflow 0
		.amdhsa_exception_fp_ieee_underflow 0
		.amdhsa_exception_fp_ieee_inexact 0
		.amdhsa_exception_int_div_zero 0
	.end_amdhsa_kernel
	.section	.text._ZN9rocsparseL12csrilu0_hashILj256ELj32ELj4EfEEviPKiS2_PT2_S2_PiS2_S5_S5_d21rocsparse_index_base_imNS_24const_host_device_scalarIfEENS7_IdEENS7_IS3_EEb,"axG",@progbits,_ZN9rocsparseL12csrilu0_hashILj256ELj32ELj4EfEEviPKiS2_PT2_S2_PiS2_S5_S5_d21rocsparse_index_base_imNS_24const_host_device_scalarIfEENS7_IdEENS7_IS3_EEb,comdat
.Lfunc_end3:
	.size	_ZN9rocsparseL12csrilu0_hashILj256ELj32ELj4EfEEviPKiS2_PT2_S2_PiS2_S5_S5_d21rocsparse_index_base_imNS_24const_host_device_scalarIfEENS7_IdEENS7_IS3_EEb, .Lfunc_end3-_ZN9rocsparseL12csrilu0_hashILj256ELj32ELj4EfEEviPKiS2_PT2_S2_PiS2_S5_S5_d21rocsparse_index_base_imNS_24const_host_device_scalarIfEENS7_IdEENS7_IS3_EEb
                                        ; -- End function
	.set _ZN9rocsparseL12csrilu0_hashILj256ELj32ELj4EfEEviPKiS2_PT2_S2_PiS2_S5_S5_d21rocsparse_index_base_imNS_24const_host_device_scalarIfEENS7_IdEENS7_IS3_EEb.num_vgpr, 30
	.set _ZN9rocsparseL12csrilu0_hashILj256ELj32ELj4EfEEviPKiS2_PT2_S2_PiS2_S5_S5_d21rocsparse_index_base_imNS_24const_host_device_scalarIfEENS7_IdEENS7_IS3_EEb.num_agpr, 0
	.set _ZN9rocsparseL12csrilu0_hashILj256ELj32ELj4EfEEviPKiS2_PT2_S2_PiS2_S5_S5_d21rocsparse_index_base_imNS_24const_host_device_scalarIfEENS7_IdEENS7_IS3_EEb.numbered_sgpr, 62
	.set _ZN9rocsparseL12csrilu0_hashILj256ELj32ELj4EfEEviPKiS2_PT2_S2_PiS2_S5_S5_d21rocsparse_index_base_imNS_24const_host_device_scalarIfEENS7_IdEENS7_IS3_EEb.num_named_barrier, 0
	.set _ZN9rocsparseL12csrilu0_hashILj256ELj32ELj4EfEEviPKiS2_PT2_S2_PiS2_S5_S5_d21rocsparse_index_base_imNS_24const_host_device_scalarIfEENS7_IdEENS7_IS3_EEb.private_seg_size, 0
	.set _ZN9rocsparseL12csrilu0_hashILj256ELj32ELj4EfEEviPKiS2_PT2_S2_PiS2_S5_S5_d21rocsparse_index_base_imNS_24const_host_device_scalarIfEENS7_IdEENS7_IS3_EEb.uses_vcc, 1
	.set _ZN9rocsparseL12csrilu0_hashILj256ELj32ELj4EfEEviPKiS2_PT2_S2_PiS2_S5_S5_d21rocsparse_index_base_imNS_24const_host_device_scalarIfEENS7_IdEENS7_IS3_EEb.uses_flat_scratch, 0
	.set _ZN9rocsparseL12csrilu0_hashILj256ELj32ELj4EfEEviPKiS2_PT2_S2_PiS2_S5_S5_d21rocsparse_index_base_imNS_24const_host_device_scalarIfEENS7_IdEENS7_IS3_EEb.has_dyn_sized_stack, 0
	.set _ZN9rocsparseL12csrilu0_hashILj256ELj32ELj4EfEEviPKiS2_PT2_S2_PiS2_S5_S5_d21rocsparse_index_base_imNS_24const_host_device_scalarIfEENS7_IdEENS7_IS3_EEb.has_recursion, 0
	.set _ZN9rocsparseL12csrilu0_hashILj256ELj32ELj4EfEEviPKiS2_PT2_S2_PiS2_S5_S5_d21rocsparse_index_base_imNS_24const_host_device_scalarIfEENS7_IdEENS7_IS3_EEb.has_indirect_call, 0
	.section	.AMDGPU.csdata,"",@progbits
; Kernel info:
; codeLenInByte = 2556
; TotalNumSgprs: 66
; NumVgprs: 30
; ScratchSize: 0
; MemoryBound: 0
; FloatMode: 240
; IeeeMode: 1
; LDSByteSize: 8192 bytes/workgroup (compile time only)
; SGPRBlocks: 8
; VGPRBlocks: 7
; NumSGPRsForWavesPerEU: 66
; NumVGPRsForWavesPerEU: 30
; Occupancy: 8
; WaveLimiterHint : 1
; COMPUTE_PGM_RSRC2:SCRATCH_EN: 0
; COMPUTE_PGM_RSRC2:USER_SGPR: 6
; COMPUTE_PGM_RSRC2:TRAP_HANDLER: 0
; COMPUTE_PGM_RSRC2:TGID_X_EN: 1
; COMPUTE_PGM_RSRC2:TGID_Y_EN: 0
; COMPUTE_PGM_RSRC2:TGID_Z_EN: 0
; COMPUTE_PGM_RSRC2:TIDIG_COMP_CNT: 0
	.section	.text._ZN9rocsparseL12csrilu0_hashILj256ELj32ELj8EfEEviPKiS2_PT2_S2_PiS2_S5_S5_d21rocsparse_index_base_imNS_24const_host_device_scalarIfEENS7_IdEENS7_IS3_EEb,"axG",@progbits,_ZN9rocsparseL12csrilu0_hashILj256ELj32ELj8EfEEviPKiS2_PT2_S2_PiS2_S5_S5_d21rocsparse_index_base_imNS_24const_host_device_scalarIfEENS7_IdEENS7_IS3_EEb,comdat
	.globl	_ZN9rocsparseL12csrilu0_hashILj256ELj32ELj8EfEEviPKiS2_PT2_S2_PiS2_S5_S5_d21rocsparse_index_base_imNS_24const_host_device_scalarIfEENS7_IdEENS7_IS3_EEb ; -- Begin function _ZN9rocsparseL12csrilu0_hashILj256ELj32ELj8EfEEviPKiS2_PT2_S2_PiS2_S5_S5_d21rocsparse_index_base_imNS_24const_host_device_scalarIfEENS7_IdEENS7_IS3_EEb
	.p2align	8
	.type	_ZN9rocsparseL12csrilu0_hashILj256ELj32ELj8EfEEviPKiS2_PT2_S2_PiS2_S5_S5_d21rocsparse_index_base_imNS_24const_host_device_scalarIfEENS7_IdEENS7_IS3_EEb,@function
_ZN9rocsparseL12csrilu0_hashILj256ELj32ELj8EfEEviPKiS2_PT2_S2_PiS2_S5_S5_d21rocsparse_index_base_imNS_24const_host_device_scalarIfEENS7_IdEENS7_IS3_EEb: ; @_ZN9rocsparseL12csrilu0_hashILj256ELj32ELj8EfEEviPKiS2_PT2_S2_PiS2_S5_S5_d21rocsparse_index_base_imNS_24const_host_device_scalarIfEENS7_IdEENS7_IS3_EEb
; %bb.0:
	s_load_dword s0, s[4:5], 0x78
	s_load_dwordx2 s[2:3], s[4:5], 0x50
	s_load_dwordx8 s[24:31], s[4:5], 0x58
	s_waitcnt lgkmcnt(0)
	s_bitcmp1_b32 s0, 0
	s_cselect_b64 s[0:1], -1, 0
	s_cmp_eq_u32 s3, 0
	s_cselect_b64 s[8:9], -1, 0
	s_cmp_lg_u32 s3, 0
	s_cselect_b64 s[34:35], -1, 0
	s_or_b64 s[0:1], s[8:9], s[0:1]
	s_xor_b64 s[10:11], s[0:1], -1
	s_and_b64 s[12:13], s[8:9], exec
	s_cselect_b32 s13, 0, s29
	s_cselect_b32 s12, 0, s28
	s_and_b64 vcc, exec, s[0:1]
	s_cbranch_vccnz .LBB4_2
; %bb.1:
	s_load_dword s0, s[26:27], 0x0
	s_mov_b64 s[12:13], s[28:29]
	s_waitcnt lgkmcnt(0)
	v_mov_b32_e32 v14, s0
	s_branch .LBB4_3
.LBB4_2:
	v_mov_b32_e32 v1, s26
	v_cndmask_b32_e64 v14, v1, 0, s[8:9]
.LBB4_3:
	v_cndmask_b32_e64 v1, 0, 1, s[10:11]
	v_mov_b32_e32 v3, s12
	v_cmp_ne_u32_e64 s[0:1], 1, v1
	s_andn2_b64 vcc, exec, s[10:11]
	v_mov_b32_e32 v4, s13
	s_cbranch_vccnz .LBB4_5
; %bb.4:
	v_mov_b32_e32 v1, s28
	v_mov_b32_e32 v2, s29
	flat_load_dwordx2 v[3:4], v[1:2]
.LBB4_5:
	s_and_b64 vcc, exec, s[0:1]
	s_cbranch_vccnz .LBB4_7
; %bb.6:
	s_load_dword s0, s[30:31], 0x0
	s_waitcnt lgkmcnt(0)
	v_mov_b32_e32 v15, s0
	s_branch .LBB4_8
.LBB4_7:
	v_mov_b32_e32 v1, s30
	v_cndmask_b32_e64 v15, v1, 0, s[8:9]
.LBB4_8:
	v_and_b32_e32 v13, 31, v0
	v_lshrrev_b32_e32 v1, 5, v0
	v_lshlrev_b32_e32 v5, 10, v1
	v_lshlrev_b32_e32 v6, 2, v13
	s_movk_i32 s0, 0x2000
	v_or_b32_e32 v2, 0xffffffe0, v13
	v_or3_b32 v5, v5, v6, s0
	s_mov_b64 s[0:1], 0
	v_mov_b32_e32 v6, -1
	s_movk_i32 s3, 0xdf
.LBB4_9:                                ; =>This Inner Loop Header: Depth=1
	v_add_u32_e32 v2, 32, v2
	v_cmp_lt_u32_e32 vcc, s3, v2
	ds_write_b32 v5, v6
	s_or_b64 s[0:1], vcc, s[0:1]
	v_add_u32_e32 v5, 0x80, v5
	s_andn2_b64 exec, exec, s[0:1]
	s_cbranch_execnz .LBB4_9
; %bb.10:
	s_or_b64 exec, exec, s[0:1]
	s_load_dword s0, s[4:5], 0x0
	s_lshl_b32 s1, s6, 3
	s_and_b32 s1, s1, 0x7fffff8
	v_or_b32_e32 v1, s1, v1
	s_waitcnt lgkmcnt(0)
	v_cmp_gt_i32_e32 vcc, s0, v1
	s_and_saveexec_b64 s[0:1], vcc
	s_cbranch_execz .LBB4_82
; %bb.11:
	s_load_dwordx16 s[8:23], s[4:5], 0x8
	v_lshlrev_b32_e32 v1, 2, v1
	v_lshlrev_b32_e32 v0, 5, v0
	v_and_b32_e32 v0, 0x1c00, v0
	v_or_b32_e32 v16, 0x2000, v0
	s_waitcnt lgkmcnt(0)
	global_load_dword v5, v1, s[18:19]
	v_mov_b32_e32 v7, s9
	v_mov_b32_e32 v10, s15
	s_waitcnt vmcnt(0)
	v_ashrrev_i32_e32 v6, 31, v5
	v_lshlrev_b64 v[1:2], 2, v[5:6]
	v_add_co_u32_e32 v6, vcc, s8, v1
	v_addc_co_u32_e32 v7, vcc, v7, v2, vcc
	global_load_dwordx2 v[7:8], v[6:7], off
	v_add_co_u32_e32 v9, vcc, s14, v1
	v_addc_co_u32_e32 v10, vcc, v10, v2, vcc
	global_load_dword v6, v[9:10], off
	s_waitcnt vmcnt(1)
	v_subrev_u32_e32 v7, s2, v7
	v_subrev_u32_e32 v10, s2, v8
	v_add_u32_e32 v8, v7, v13
	v_cmp_lt_i32_e32 vcc, v8, v10
	s_and_saveexec_b64 s[0:1], vcc
	s_cbranch_execz .LBB4_34
; %bb.12:
	s_mov_b64 s[6:7], 0
	v_mov_b32_e32 v11, s11
	s_movk_i32 s3, 0x67
	v_mov_b32_e32 v12, -1
	s_branch .LBB4_14
.LBB4_13:                               ;   in Loop: Header=BB4_14 Depth=1
	s_or_b64 exec, exec, s[18:19]
	v_add_u32_e32 v8, 32, v8
	v_cmp_ge_i32_e32 vcc, v8, v10
	s_or_b64 s[6:7], vcc, s[6:7]
	s_andn2_b64 exec, exec, s[6:7]
	s_cbranch_execz .LBB4_34
.LBB4_14:                               ; =>This Loop Header: Depth=1
                                        ;     Child Loop BB4_23 Depth 2
	v_ashrrev_i32_e32 v9, 31, v8
	v_lshlrev_b64 v[17:18], 2, v[8:9]
	s_mov_b64 s[26:27], 0
	v_add_co_u32_e32 v17, vcc, s10, v17
	v_addc_co_u32_e32 v18, vcc, v11, v18, vcc
	global_load_dword v9, v[17:18], off
	v_mov_b32_e32 v17, 0x100
                                        ; implicit-def: $sgpr18_sgpr19
                                        ; implicit-def: $sgpr28_sgpr29
                                        ; implicit-def: $sgpr30_sgpr31
	s_waitcnt vmcnt(0)
	v_mul_lo_u32 v19, v9, s3
	s_branch .LBB4_23
.LBB4_15:                               ;   in Loop: Header=BB4_23 Depth=2
	s_or_b64 exec, exec, s[54:55]
	s_orn2_b64 s[50:51], s[50:51], exec
	s_orn2_b64 s[52:53], s[52:53], exec
.LBB4_16:                               ;   in Loop: Header=BB4_23 Depth=2
	s_or_b64 exec, exec, s[48:49]
	s_and_b64 s[50:51], s[50:51], exec
	s_orn2_b64 s[48:49], s[52:53], exec
.LBB4_17:                               ;   in Loop: Header=BB4_23 Depth=2
	s_or_b64 exec, exec, s[46:47]
	s_orn2_b64 s[50:51], s[50:51], exec
	s_orn2_b64 s[46:47], s[48:49], exec
.LBB4_18:                               ;   in Loop: Header=BB4_23 Depth=2
	s_or_b64 exec, exec, s[44:45]
	s_and_b64 s[48:49], s[50:51], exec
	s_orn2_b64 s[44:45], s[46:47], exec
.LBB4_19:                               ;   in Loop: Header=BB4_23 Depth=2
	s_or_b64 exec, exec, s[42:43]
	s_orn2_b64 s[42:43], s[48:49], exec
	s_orn2_b64 s[44:45], s[44:45], exec
.LBB4_20:                               ;   in Loop: Header=BB4_23 Depth=2
	s_or_b64 exec, exec, s[40:41]
	s_and_b64 s[42:43], s[42:43], exec
	s_orn2_b64 s[40:41], s[44:45], exec
.LBB4_21:                               ;   in Loop: Header=BB4_23 Depth=2
	s_or_b64 exec, exec, s[38:39]
	s_andn2_b64 s[30:31], s[30:31], exec
	s_and_b64 s[38:39], s[42:43], exec
	s_or_b64 s[30:31], s[30:31], s[38:39]
	s_andn2_b64 s[28:29], s[28:29], exec
	s_and_b64 s[38:39], s[40:41], exec
	s_or_b64 s[28:29], s[28:29], s[38:39]
.LBB4_22:                               ;   in Loop: Header=BB4_23 Depth=2
	s_or_b64 exec, exec, s[36:37]
	s_and_b64 s[36:37], exec, s[28:29]
	s_or_b64 s[26:27], s[36:37], s[26:27]
	s_andn2_b64 s[18:19], s[18:19], exec
	s_and_b64 s[36:37], s[30:31], exec
	s_or_b64 s[18:19], s[18:19], s[36:37]
	s_andn2_b64 exec, exec, s[26:27]
	s_cbranch_execz .LBB4_32
.LBB4_23:                               ;   Parent Loop BB4_14 Depth=1
                                        ; =>  This Inner Loop Header: Depth=2
	v_and_b32_e32 v18, 0xff, v19
	v_lshl_add_u32 v20, v18, 2, v16
	ds_read_b32 v21, v20
	s_or_b64 s[30:31], s[30:31], exec
	s_or_b64 s[28:29], s[28:29], exec
	s_waitcnt lgkmcnt(0)
	v_cmp_ne_u32_e32 vcc, v21, v9
	s_and_saveexec_b64 s[36:37], vcc
	s_cbranch_execz .LBB4_22
; %bb.24:                               ;   in Loop: Header=BB4_23 Depth=2
	ds_cmpst_rtn_b32 v20, v20, v12, v9
	s_mov_b64 s[40:41], -1
	s_mov_b64 s[42:43], 0
	s_waitcnt lgkmcnt(0)
	v_cmp_ne_u32_e32 vcc, -1, v20
	s_and_saveexec_b64 s[38:39], vcc
	s_cbranch_execz .LBB4_21
; %bb.25:                               ;   in Loop: Header=BB4_23 Depth=2
	v_add_u32_e32 v18, 1, v19
	v_and_b32_e32 v18, 0xff, v18
	v_lshl_add_u32 v20, v18, 2, v16
	ds_read_b32 v21, v20
	s_mov_b64 s[44:45], -1
	s_mov_b64 s[42:43], -1
	s_waitcnt lgkmcnt(0)
	v_cmp_ne_u32_e32 vcc, v21, v9
	s_and_saveexec_b64 s[40:41], vcc
	s_cbranch_execz .LBB4_20
; %bb.26:                               ;   in Loop: Header=BB4_23 Depth=2
	ds_cmpst_rtn_b32 v20, v20, v12, v9
	s_mov_b64 s[48:49], 0
	s_waitcnt lgkmcnt(0)
	v_cmp_ne_u32_e32 vcc, -1, v20
	s_and_saveexec_b64 s[42:43], vcc
	s_cbranch_execz .LBB4_19
; %bb.27:                               ;   in Loop: Header=BB4_23 Depth=2
	v_add_u32_e32 v18, 2, v19
	v_and_b32_e32 v18, 0xff, v18
	v_lshl_add_u32 v20, v18, 2, v16
	ds_read_b32 v21, v20
	s_mov_b64 s[46:47], -1
	s_mov_b64 s[50:51], -1
	s_waitcnt lgkmcnt(0)
	v_cmp_ne_u32_e32 vcc, v21, v9
	s_and_saveexec_b64 s[44:45], vcc
	s_cbranch_execz .LBB4_18
; %bb.28:                               ;   in Loop: Header=BB4_23 Depth=2
	ds_cmpst_rtn_b32 v20, v20, v12, v9
	s_mov_b64 s[48:49], -1
	s_mov_b64 s[50:51], 0
	s_waitcnt lgkmcnt(0)
	v_cmp_ne_u32_e32 vcc, -1, v20
	s_and_saveexec_b64 s[46:47], vcc
	s_cbranch_execz .LBB4_17
; %bb.29:                               ;   in Loop: Header=BB4_23 Depth=2
	v_add_u32_e32 v18, 3, v19
	v_and_b32_e32 v18, 0xff, v18
	v_lshl_add_u32 v20, v18, 2, v16
	ds_read_b32 v19, v20
	s_mov_b64 s[52:53], -1
	s_mov_b64 s[50:51], -1
	s_waitcnt lgkmcnt(0)
	v_cmp_ne_u32_e32 vcc, v19, v9
                                        ; implicit-def: $vgpr19
	s_and_saveexec_b64 s[48:49], vcc
	s_cbranch_execz .LBB4_16
; %bb.30:                               ;   in Loop: Header=BB4_23 Depth=2
	ds_cmpst_rtn_b32 v19, v20, v12, v9
	s_mov_b64 s[50:51], 0
	s_waitcnt lgkmcnt(0)
	v_cmp_ne_u32_e32 vcc, -1, v19
                                        ; implicit-def: $vgpr19
	s_and_saveexec_b64 s[54:55], vcc
	s_cbranch_execz .LBB4_15
; %bb.31:                               ;   in Loop: Header=BB4_23 Depth=2
	v_add_u32_e32 v17, -4, v17
	v_cmp_eq_u32_e32 vcc, 0, v17
	s_mov_b64 s[50:51], exec
	v_add_u32_e32 v19, 1, v18
	s_orn2_b64 s[52:53], vcc, exec
	s_branch .LBB4_15
.LBB4_32:                               ;   in Loop: Header=BB4_14 Depth=1
	s_or_b64 exec, exec, s[26:27]
	s_xor_b64 s[18:19], s[18:19], -1
	s_and_saveexec_b64 s[26:27], s[18:19]
	s_xor_b64 s[18:19], exec, s[26:27]
	s_cbranch_execz .LBB4_13
; %bb.33:                               ;   in Loop: Header=BB4_14 Depth=1
	v_lshl_add_u32 v9, v18, 2, v0
	ds_write_b32 v9, v8
	s_branch .LBB4_13
.LBB4_34:
	s_or_b64 exec, exec, s[0:1]
	s_waitcnt vmcnt(0)
	v_cmp_lt_i32_e32 vcc, v7, v6
	s_waitcnt lgkmcnt(0)
	s_and_saveexec_b64 s[0:1], vcc
	s_cbranch_execz .LBB4_64
; %bb.35:
	v_add_u32_e32 v17, 1, v13
	s_mov_b64 s[6:7], 0
	v_mov_b32_e32 v18, s11
	v_mov_b32_e32 v19, s13
	;; [unrolled: 1-line block ×5, first 2 shown]
	s_movk_i32 s3, 0x67
	s_branch .LBB4_38
.LBB4_36:                               ;   in Loop: Header=BB4_38 Depth=1
	s_or_b64 exec, exec, s[26:27]
	v_add_u32_e32 v7, 1, v7
	v_cmp_ge_i32_e32 vcc, v7, v6
	s_orn2_b64 s[26:27], vcc, exec
.LBB4_37:                               ;   in Loop: Header=BB4_38 Depth=1
	s_or_b64 exec, exec, s[18:19]
	s_and_b64 s[18:19], exec, s[26:27]
	s_or_b64 s[6:7], s[18:19], s[6:7]
	s_andn2_b64 exec, exec, s[6:7]
	s_cbranch_execz .LBB4_64
.LBB4_38:                               ; =>This Loop Header: Depth=1
                                        ;     Child Loop BB4_39 Depth 2
                                        ;     Child Loop BB4_44 Depth 2
                                        ;       Child Loop BB4_53 Depth 3
	v_ashrrev_i32_e32 v8, 31, v7
	v_lshlrev_b64 v[9:10], 2, v[7:8]
	s_mov_b64 s[18:19], 0
	v_add_co_u32_e32 v11, vcc, s10, v9
	v_addc_co_u32_e32 v12, vcc, v18, v10, vcc
	global_load_dword v8, v[11:12], off
	v_add_co_u32_e32 v9, vcc, s12, v9
	v_addc_co_u32_e32 v10, vcc, v19, v10, vcc
	global_load_dword v24, v[9:10], off
	s_waitcnt vmcnt(1)
	v_subrev_u32_e32 v11, s2, v8
	v_ashrrev_i32_e32 v12, 31, v11
	v_lshlrev_b64 v[11:12], 2, v[11:12]
	v_add_co_u32_e32 v26, vcc, s8, v11
	v_addc_co_u32_e32 v27, vcc, v20, v12, vcc
	v_add_co_u32_e32 v28, vcc, s14, v11
	v_addc_co_u32_e32 v29, vcc, v21, v12, vcc
	global_load_dword v8, v[26:27], off offset:4
	global_load_dword v25, v[28:29], off
	v_add_co_u32_e32 v11, vcc, s16, v11
	v_addc_co_u32_e32 v12, vcc, v22, v12, vcc
.LBB4_39:                               ;   Parent Loop BB4_38 Depth=1
                                        ; =>  This Inner Loop Header: Depth=2
	global_load_dword v23, v[11:12], off glc
	s_waitcnt vmcnt(0)
	v_cmp_ne_u32_e32 vcc, 0, v23
	s_or_b64 s[18:19], vcc, s[18:19]
	s_andn2_b64 exec, exec, s[18:19]
	s_cbranch_execnz .LBB4_39
; %bb.40:                               ;   in Loop: Header=BB4_38 Depth=1
	s_or_b64 exec, exec, s[18:19]
	v_subrev_u32_e32 v23, s2, v8
	v_add_u32_e32 v8, -1, v23
	v_cmp_eq_u32_e32 vcc, -1, v25
	v_cndmask_b32_e32 v11, v25, v8, vcc
	v_ashrrev_i32_e32 v12, 31, v11
	v_lshlrev_b64 v[25:26], 2, v[11:12]
	buffer_wbinvl1_vol
	v_add_co_u32_e32 v25, vcc, s12, v25
	v_addc_co_u32_e32 v26, vcc, v19, v26, vcc
	global_load_dword v12, v[25:26], off
	s_mov_b64 s[26:27], -1
	s_waitcnt vmcnt(0)
	v_cmp_neq_f32_e32 vcc, 0, v12
	s_and_saveexec_b64 s[18:19], vcc
	s_cbranch_execz .LBB4_37
; %bb.41:                               ;   in Loop: Header=BB4_38 Depth=1
	v_div_scale_f32 v8, s[26:27], v12, v12, v24
	v_div_scale_f32 v25, vcc, v24, v12, v24
	v_rcp_f32_e32 v26, v8
	v_fma_f32 v27, -v8, v26, 1.0
	v_fmac_f32_e32 v26, v27, v26
	v_mul_f32_e32 v27, v25, v26
	v_fma_f32 v28, -v8, v27, v25
	v_fmac_f32_e32 v27, v28, v26
	v_fma_f32 v8, -v8, v27, v25
	v_div_fmas_f32 v25, v8, v26, v27
	v_add_u32_e32 v8, v17, v11
	v_cmp_lt_i32_e32 vcc, v8, v23
	v_div_fixup_f32 v11, v25, v12, v24
	global_store_dword v[9:10], v11, off
	s_and_saveexec_b64 s[26:27], vcc
	s_cbranch_execz .LBB4_36
; %bb.42:                               ;   in Loop: Header=BB4_38 Depth=1
	s_mov_b64 s[28:29], 0
	s_branch .LBB4_44
.LBB4_43:                               ;   in Loop: Header=BB4_44 Depth=2
	s_or_b64 exec, exec, s[30:31]
	v_add_u32_e32 v8, 32, v8
	v_cmp_ge_i32_e32 vcc, v8, v23
	s_or_b64 s[28:29], vcc, s[28:29]
	s_andn2_b64 exec, exec, s[28:29]
	s_cbranch_execz .LBB4_36
.LBB4_44:                               ;   Parent Loop BB4_38 Depth=1
                                        ; =>  This Loop Header: Depth=2
                                        ;       Child Loop BB4_53 Depth 3
	v_ashrrev_i32_e32 v9, 31, v8
	v_lshlrev_b64 v[9:10], 2, v[8:9]
	s_mov_b64 s[36:37], 0
	v_add_co_u32_e32 v24, vcc, s10, v9
	v_addc_co_u32_e32 v25, vcc, v18, v10, vcc
	global_load_dword v12, v[24:25], off
	v_mov_b32_e32 v24, 0x100
                                        ; implicit-def: $sgpr30_sgpr31
                                        ; implicit-def: $sgpr38_sgpr39
                                        ; implicit-def: $sgpr40_sgpr41
	s_waitcnt vmcnt(0)
	v_mul_lo_u32 v26, v12, s3
	s_branch .LBB4_53
.LBB4_45:                               ;   in Loop: Header=BB4_53 Depth=3
	s_or_b64 exec, exec, s[60:61]
	s_orn2_b64 s[56:57], s[56:57], exec
	s_orn2_b64 s[58:59], s[58:59], exec
.LBB4_46:                               ;   in Loop: Header=BB4_53 Depth=3
	s_or_b64 exec, exec, s[54:55]
	s_and_b64 s[56:57], s[56:57], exec
	s_orn2_b64 s[54:55], s[58:59], exec
.LBB4_47:                               ;   in Loop: Header=BB4_53 Depth=3
	s_or_b64 exec, exec, s[52:53]
	s_orn2_b64 s[56:57], s[56:57], exec
	s_orn2_b64 s[52:53], s[54:55], exec
.LBB4_48:                               ;   in Loop: Header=BB4_53 Depth=3
	s_or_b64 exec, exec, s[50:51]
	s_and_b64 s[54:55], s[56:57], exec
	s_orn2_b64 s[50:51], s[52:53], exec
.LBB4_49:                               ;   in Loop: Header=BB4_53 Depth=3
	s_or_b64 exec, exec, s[48:49]
	s_orn2_b64 s[48:49], s[54:55], exec
	s_orn2_b64 s[50:51], s[50:51], exec
.LBB4_50:                               ;   in Loop: Header=BB4_53 Depth=3
	s_or_b64 exec, exec, s[46:47]
	s_and_b64 s[48:49], s[48:49], exec
	s_orn2_b64 s[46:47], s[50:51], exec
.LBB4_51:                               ;   in Loop: Header=BB4_53 Depth=3
	s_or_b64 exec, exec, s[44:45]
	s_andn2_b64 s[40:41], s[40:41], exec
	s_and_b64 s[44:45], s[48:49], exec
	s_or_b64 s[40:41], s[40:41], s[44:45]
	s_andn2_b64 s[38:39], s[38:39], exec
	s_and_b64 s[44:45], s[46:47], exec
	s_or_b64 s[38:39], s[38:39], s[44:45]
.LBB4_52:                               ;   in Loop: Header=BB4_53 Depth=3
	s_or_b64 exec, exec, s[42:43]
	s_and_b64 s[42:43], exec, s[38:39]
	s_or_b64 s[36:37], s[42:43], s[36:37]
	s_andn2_b64 s[30:31], s[30:31], exec
	s_and_b64 s[42:43], s[40:41], exec
	s_or_b64 s[30:31], s[30:31], s[42:43]
	s_andn2_b64 exec, exec, s[36:37]
	s_cbranch_execz .LBB4_62
.LBB4_53:                               ;   Parent Loop BB4_38 Depth=1
                                        ;     Parent Loop BB4_44 Depth=2
                                        ; =>    This Inner Loop Header: Depth=3
	v_and_b32_e32 v25, 0xff, v26
	v_lshl_add_u32 v27, v25, 2, v16
	ds_read_b32 v27, v27
	s_or_b64 s[40:41], s[40:41], exec
	s_or_b64 s[38:39], s[38:39], exec
	s_waitcnt lgkmcnt(0)
	v_cmp_ne_u32_e32 vcc, -1, v27
	s_and_saveexec_b64 s[42:43], vcc
	s_cbranch_execz .LBB4_52
; %bb.54:                               ;   in Loop: Header=BB4_53 Depth=3
	v_cmp_ne_u32_e32 vcc, v27, v12
	s_mov_b64 s[46:47], -1
	s_mov_b64 s[48:49], 0
	s_and_saveexec_b64 s[44:45], vcc
	s_cbranch_execz .LBB4_51
; %bb.55:                               ;   in Loop: Header=BB4_53 Depth=3
	v_add_u32_e32 v25, 1, v26
	v_and_b32_e32 v25, 0xff, v25
	v_lshl_add_u32 v27, v25, 2, v16
	ds_read_b32 v27, v27
	s_mov_b64 s[50:51], -1
	s_mov_b64 s[48:49], -1
	s_waitcnt lgkmcnt(0)
	v_cmp_ne_u32_e32 vcc, -1, v27
	s_and_saveexec_b64 s[46:47], vcc
	s_cbranch_execz .LBB4_50
; %bb.56:                               ;   in Loop: Header=BB4_53 Depth=3
	v_cmp_ne_u32_e32 vcc, v27, v12
	s_mov_b64 s[54:55], 0
	s_and_saveexec_b64 s[48:49], vcc
	s_cbranch_execz .LBB4_49
; %bb.57:                               ;   in Loop: Header=BB4_53 Depth=3
	v_add_u32_e32 v25, 2, v26
	v_and_b32_e32 v25, 0xff, v25
	v_lshl_add_u32 v27, v25, 2, v16
	ds_read_b32 v27, v27
	s_mov_b64 s[52:53], -1
	s_mov_b64 s[56:57], -1
	s_waitcnt lgkmcnt(0)
	v_cmp_ne_u32_e32 vcc, -1, v27
	s_and_saveexec_b64 s[50:51], vcc
	s_cbranch_execz .LBB4_48
; %bb.58:                               ;   in Loop: Header=BB4_53 Depth=3
	v_cmp_ne_u32_e32 vcc, v27, v12
	s_mov_b64 s[54:55], -1
	s_mov_b64 s[56:57], 0
	s_and_saveexec_b64 s[52:53], vcc
	s_cbranch_execz .LBB4_47
; %bb.59:                               ;   in Loop: Header=BB4_53 Depth=3
	v_add_u32_e32 v25, 3, v26
	v_and_b32_e32 v25, 0xff, v25
	v_lshl_add_u32 v26, v25, 2, v16
	ds_read_b32 v27, v26
	s_mov_b64 s[58:59], -1
	s_mov_b64 s[56:57], -1
                                        ; implicit-def: $vgpr26
	s_waitcnt lgkmcnt(0)
	v_cmp_ne_u32_e32 vcc, -1, v27
	s_and_saveexec_b64 s[54:55], vcc
	s_cbranch_execz .LBB4_46
; %bb.60:                               ;   in Loop: Header=BB4_53 Depth=3
	v_cmp_ne_u32_e32 vcc, v27, v12
	s_mov_b64 s[56:57], 0
                                        ; implicit-def: $vgpr26
	s_and_saveexec_b64 s[60:61], vcc
	s_cbranch_execz .LBB4_45
; %bb.61:                               ;   in Loop: Header=BB4_53 Depth=3
	v_add_u32_e32 v24, -4, v24
	v_cmp_eq_u32_e32 vcc, 0, v24
	s_mov_b64 s[56:57], exec
	v_add_u32_e32 v26, 1, v25
	s_orn2_b64 s[58:59], vcc, exec
	s_branch .LBB4_45
.LBB4_62:                               ;   in Loop: Header=BB4_44 Depth=2
	s_or_b64 exec, exec, s[36:37]
	s_xor_b64 s[30:31], s[30:31], -1
	s_and_saveexec_b64 s[36:37], s[30:31]
	s_xor_b64 s[30:31], exec, s[36:37]
	s_cbranch_execz .LBB4_43
; %bb.63:                               ;   in Loop: Header=BB4_44 Depth=2
	v_lshl_add_u32 v12, v25, 2, v0
	ds_read_b32 v24, v12
	v_add_co_u32_e32 v9, vcc, s12, v9
	v_addc_co_u32_e32 v10, vcc, v19, v10, vcc
	s_waitcnt lgkmcnt(0)
	v_ashrrev_i32_e32 v25, 31, v24
	v_lshlrev_b64 v[24:25], 2, v[24:25]
	v_add_co_u32_e32 v24, vcc, s12, v24
	v_addc_co_u32_e32 v25, vcc, v19, v25, vcc
	global_load_dword v12, v[9:10], off
	global_load_dword v26, v[24:25], off
	s_waitcnt vmcnt(0)
	v_fma_f32 v9, -v11, v12, v26
	global_store_dword v[24:25], v9, off
	s_branch .LBB4_43
.LBB4_64:
	s_or_b64 exec, exec, s[0:1]
	v_cmp_lt_i32_e32 vcc, -1, v6
	s_and_saveexec_b64 s[6:7], vcc
	s_cbranch_execz .LBB4_80
; %bb.65:
	v_mov_b32_e32 v7, 0
	v_lshlrev_b64 v[6:7], 2, v[6:7]
	v_mov_b32_e32 v0, s13
	v_add_co_u32_e32 v8, vcc, s12, v6
	v_addc_co_u32_e32 v9, vcc, v0, v7, vcc
	global_load_dword v0, v[8:9], off
	v_cmp_eq_u32_e64 s[0:1], 0, v13
	s_mov_b64 s[8:9], -1
	s_waitcnt vmcnt(0)
	v_cmp_gt_f32_e32 vcc, 0, v0
	v_cndmask_b32_e64 v6, v0, -v0, vcc
	v_cvt_f64_f32_e32 v[6:7], v6
	s_andn2_b64 vcc, exec, s[34:35]
	s_cbranch_vccnz .LBB4_69
; %bb.66:
	v_cvt_f64_f32_e32 v[10:11], v14
	s_cmp_eq_u64 s[24:25], 8
	s_cselect_b64 vcc, -1, 0
	v_cndmask_b32_e32 v4, v11, v4, vcc
	v_cndmask_b32_e32 v3, v10, v3, vcc
	v_cmp_ge_f64_e32 vcc, v[3:4], v[6:7]
	s_and_b64 s[10:11], s[0:1], vcc
	s_and_saveexec_b64 s[8:9], s[10:11]
	s_cbranch_execz .LBB4_68
; %bb.67:
	global_store_dword v[8:9], v15, off
	s_waitcnt vmcnt(0)
	buffer_wbinvl1_vol
.LBB4_68:
	s_or_b64 exec, exec, s[8:9]
	s_mov_b64 s[8:9], 0
.LBB4_69:
	s_andn2_b64 vcc, exec, s[8:9]
	s_cbranch_vccnz .LBB4_80
; %bb.70:
	s_load_dwordx2 s[4:5], s[4:5], 0x48
	v_add_u32_e32 v3, s2, v5
	s_waitcnt lgkmcnt(0)
	v_cmp_ge_f64_e32 vcc, s[4:5], v[6:7]
	s_and_b64 s[4:5], s[0:1], vcc
	s_and_saveexec_b64 s[2:3], s[4:5]
	s_cbranch_execz .LBB4_75
; %bb.71:
	s_mov_b64 s[4:5], exec
	s_brev_b32 s8, -2
.LBB4_72:                               ; =>This Inner Loop Header: Depth=1
	s_ff1_i32_b64 s9, s[4:5]
	v_readlane_b32 s12, v3, s9
	s_lshl_b64 s[10:11], 1, s9
	s_min_i32 s8, s8, s12
	s_andn2_b64 s[4:5], s[4:5], s[10:11]
	s_cmp_lg_u64 s[4:5], 0
	s_cbranch_scc1 .LBB4_72
; %bb.73:
	v_mbcnt_lo_u32_b32 v4, exec_lo, 0
	v_mbcnt_hi_u32_b32 v4, exec_hi, v4
	v_cmp_eq_u32_e32 vcc, 0, v4
	s_and_saveexec_b64 s[4:5], vcc
	s_xor_b64 s[4:5], exec, s[4:5]
	s_cbranch_execz .LBB4_75
; %bb.74:
	v_mov_b32_e32 v4, 0
	v_mov_b32_e32 v5, s8
	global_atomic_smin v4, v5, s[22:23]
.LBB4_75:
	s_or_b64 exec, exec, s[2:3]
	v_cmp_eq_f32_e32 vcc, 0, v0
	s_and_b64 s[0:1], s[0:1], vcc
	s_and_b64 exec, exec, s[0:1]
	s_cbranch_execz .LBB4_80
; %bb.76:
	s_mov_b64 s[0:1], exec
	s_brev_b32 s2, -2
.LBB4_77:                               ; =>This Inner Loop Header: Depth=1
	s_ff1_i32_b64 s3, s[0:1]
	v_readlane_b32 s8, v3, s3
	s_lshl_b64 s[4:5], 1, s3
	s_min_i32 s2, s2, s8
	s_andn2_b64 s[0:1], s[0:1], s[4:5]
	s_cmp_lg_u64 s[0:1], 0
	s_cbranch_scc1 .LBB4_77
; %bb.78:
	v_mbcnt_lo_u32_b32 v0, exec_lo, 0
	v_mbcnt_hi_u32_b32 v0, exec_hi, v0
	v_cmp_eq_u32_e32 vcc, 0, v0
	s_and_saveexec_b64 s[0:1], vcc
	s_xor_b64 s[0:1], exec, s[0:1]
	s_cbranch_execz .LBB4_80
; %bb.79:
	v_mov_b32_e32 v0, 0
	v_mov_b32_e32 v3, s2
	global_atomic_smin v0, v3, s[20:21]
.LBB4_80:
	s_or_b64 exec, exec, s[6:7]
	v_cmp_eq_u32_e32 vcc, 0, v13
	s_waitcnt vmcnt(0)
	buffer_wbinvl1_vol
	s_and_b64 exec, exec, vcc
	s_cbranch_execz .LBB4_82
; %bb.81:
	v_mov_b32_e32 v3, s17
	v_add_co_u32_e32 v0, vcc, s16, v1
	v_addc_co_u32_e32 v1, vcc, v3, v2, vcc
	v_mov_b32_e32 v2, 1
	global_store_dword v[0:1], v2, off
.LBB4_82:
	s_endpgm
	.section	.rodata,"a",@progbits
	.p2align	6, 0x0
	.amdhsa_kernel _ZN9rocsparseL12csrilu0_hashILj256ELj32ELj8EfEEviPKiS2_PT2_S2_PiS2_S5_S5_d21rocsparse_index_base_imNS_24const_host_device_scalarIfEENS7_IdEENS7_IS3_EEb
		.amdhsa_group_segment_fixed_size 16384
		.amdhsa_private_segment_fixed_size 0
		.amdhsa_kernarg_size 124
		.amdhsa_user_sgpr_count 6
		.amdhsa_user_sgpr_private_segment_buffer 1
		.amdhsa_user_sgpr_dispatch_ptr 0
		.amdhsa_user_sgpr_queue_ptr 0
		.amdhsa_user_sgpr_kernarg_segment_ptr 1
		.amdhsa_user_sgpr_dispatch_id 0
		.amdhsa_user_sgpr_flat_scratch_init 0
		.amdhsa_user_sgpr_private_segment_size 0
		.amdhsa_uses_dynamic_stack 0
		.amdhsa_system_sgpr_private_segment_wavefront_offset 0
		.amdhsa_system_sgpr_workgroup_id_x 1
		.amdhsa_system_sgpr_workgroup_id_y 0
		.amdhsa_system_sgpr_workgroup_id_z 0
		.amdhsa_system_sgpr_workgroup_info 0
		.amdhsa_system_vgpr_workitem_id 0
		.amdhsa_next_free_vgpr 49
		.amdhsa_next_free_sgpr 98
		.amdhsa_reserve_vcc 1
		.amdhsa_reserve_flat_scratch 0
		.amdhsa_float_round_mode_32 0
		.amdhsa_float_round_mode_16_64 0
		.amdhsa_float_denorm_mode_32 3
		.amdhsa_float_denorm_mode_16_64 3
		.amdhsa_dx10_clamp 1
		.amdhsa_ieee_mode 1
		.amdhsa_fp16_overflow 0
		.amdhsa_exception_fp_ieee_invalid_op 0
		.amdhsa_exception_fp_denorm_src 0
		.amdhsa_exception_fp_ieee_div_zero 0
		.amdhsa_exception_fp_ieee_overflow 0
		.amdhsa_exception_fp_ieee_underflow 0
		.amdhsa_exception_fp_ieee_inexact 0
		.amdhsa_exception_int_div_zero 0
	.end_amdhsa_kernel
	.section	.text._ZN9rocsparseL12csrilu0_hashILj256ELj32ELj8EfEEviPKiS2_PT2_S2_PiS2_S5_S5_d21rocsparse_index_base_imNS_24const_host_device_scalarIfEENS7_IdEENS7_IS3_EEb,"axG",@progbits,_ZN9rocsparseL12csrilu0_hashILj256ELj32ELj8EfEEviPKiS2_PT2_S2_PiS2_S5_S5_d21rocsparse_index_base_imNS_24const_host_device_scalarIfEENS7_IdEENS7_IS3_EEb,comdat
.Lfunc_end4:
	.size	_ZN9rocsparseL12csrilu0_hashILj256ELj32ELj8EfEEviPKiS2_PT2_S2_PiS2_S5_S5_d21rocsparse_index_base_imNS_24const_host_device_scalarIfEENS7_IdEENS7_IS3_EEb, .Lfunc_end4-_ZN9rocsparseL12csrilu0_hashILj256ELj32ELj8EfEEviPKiS2_PT2_S2_PiS2_S5_S5_d21rocsparse_index_base_imNS_24const_host_device_scalarIfEENS7_IdEENS7_IS3_EEb
                                        ; -- End function
	.set _ZN9rocsparseL12csrilu0_hashILj256ELj32ELj8EfEEviPKiS2_PT2_S2_PiS2_S5_S5_d21rocsparse_index_base_imNS_24const_host_device_scalarIfEENS7_IdEENS7_IS3_EEb.num_vgpr, 30
	.set _ZN9rocsparseL12csrilu0_hashILj256ELj32ELj8EfEEviPKiS2_PT2_S2_PiS2_S5_S5_d21rocsparse_index_base_imNS_24const_host_device_scalarIfEENS7_IdEENS7_IS3_EEb.num_agpr, 0
	.set _ZN9rocsparseL12csrilu0_hashILj256ELj32ELj8EfEEviPKiS2_PT2_S2_PiS2_S5_S5_d21rocsparse_index_base_imNS_24const_host_device_scalarIfEENS7_IdEENS7_IS3_EEb.numbered_sgpr, 62
	.set _ZN9rocsparseL12csrilu0_hashILj256ELj32ELj8EfEEviPKiS2_PT2_S2_PiS2_S5_S5_d21rocsparse_index_base_imNS_24const_host_device_scalarIfEENS7_IdEENS7_IS3_EEb.num_named_barrier, 0
	.set _ZN9rocsparseL12csrilu0_hashILj256ELj32ELj8EfEEviPKiS2_PT2_S2_PiS2_S5_S5_d21rocsparse_index_base_imNS_24const_host_device_scalarIfEENS7_IdEENS7_IS3_EEb.private_seg_size, 0
	.set _ZN9rocsparseL12csrilu0_hashILj256ELj32ELj8EfEEviPKiS2_PT2_S2_PiS2_S5_S5_d21rocsparse_index_base_imNS_24const_host_device_scalarIfEENS7_IdEENS7_IS3_EEb.uses_vcc, 1
	.set _ZN9rocsparseL12csrilu0_hashILj256ELj32ELj8EfEEviPKiS2_PT2_S2_PiS2_S5_S5_d21rocsparse_index_base_imNS_24const_host_device_scalarIfEENS7_IdEENS7_IS3_EEb.uses_flat_scratch, 0
	.set _ZN9rocsparseL12csrilu0_hashILj256ELj32ELj8EfEEviPKiS2_PT2_S2_PiS2_S5_S5_d21rocsparse_index_base_imNS_24const_host_device_scalarIfEENS7_IdEENS7_IS3_EEb.has_dyn_sized_stack, 0
	.set _ZN9rocsparseL12csrilu0_hashILj256ELj32ELj8EfEEviPKiS2_PT2_S2_PiS2_S5_S5_d21rocsparse_index_base_imNS_24const_host_device_scalarIfEENS7_IdEENS7_IS3_EEb.has_recursion, 0
	.set _ZN9rocsparseL12csrilu0_hashILj256ELj32ELj8EfEEviPKiS2_PT2_S2_PiS2_S5_S5_d21rocsparse_index_base_imNS_24const_host_device_scalarIfEENS7_IdEENS7_IS3_EEb.has_indirect_call, 0
	.section	.AMDGPU.csdata,"",@progbits
; Kernel info:
; codeLenInByte = 2556
; TotalNumSgprs: 66
; NumVgprs: 30
; ScratchSize: 0
; MemoryBound: 0
; FloatMode: 240
; IeeeMode: 1
; LDSByteSize: 16384 bytes/workgroup (compile time only)
; SGPRBlocks: 12
; VGPRBlocks: 12
; NumSGPRsForWavesPerEU: 102
; NumVGPRsForWavesPerEU: 49
; Occupancy: 4
; WaveLimiterHint : 1
; COMPUTE_PGM_RSRC2:SCRATCH_EN: 0
; COMPUTE_PGM_RSRC2:USER_SGPR: 6
; COMPUTE_PGM_RSRC2:TRAP_HANDLER: 0
; COMPUTE_PGM_RSRC2:TGID_X_EN: 1
; COMPUTE_PGM_RSRC2:TGID_Y_EN: 0
; COMPUTE_PGM_RSRC2:TGID_Z_EN: 0
; COMPUTE_PGM_RSRC2:TIDIG_COMP_CNT: 0
	.section	.text._ZN9rocsparseL12csrilu0_hashILj256ELj32ELj16EfEEviPKiS2_PT2_S2_PiS2_S5_S5_d21rocsparse_index_base_imNS_24const_host_device_scalarIfEENS7_IdEENS7_IS3_EEb,"axG",@progbits,_ZN9rocsparseL12csrilu0_hashILj256ELj32ELj16EfEEviPKiS2_PT2_S2_PiS2_S5_S5_d21rocsparse_index_base_imNS_24const_host_device_scalarIfEENS7_IdEENS7_IS3_EEb,comdat
	.globl	_ZN9rocsparseL12csrilu0_hashILj256ELj32ELj16EfEEviPKiS2_PT2_S2_PiS2_S5_S5_d21rocsparse_index_base_imNS_24const_host_device_scalarIfEENS7_IdEENS7_IS3_EEb ; -- Begin function _ZN9rocsparseL12csrilu0_hashILj256ELj32ELj16EfEEviPKiS2_PT2_S2_PiS2_S5_S5_d21rocsparse_index_base_imNS_24const_host_device_scalarIfEENS7_IdEENS7_IS3_EEb
	.p2align	8
	.type	_ZN9rocsparseL12csrilu0_hashILj256ELj32ELj16EfEEviPKiS2_PT2_S2_PiS2_S5_S5_d21rocsparse_index_base_imNS_24const_host_device_scalarIfEENS7_IdEENS7_IS3_EEb,@function
_ZN9rocsparseL12csrilu0_hashILj256ELj32ELj16EfEEviPKiS2_PT2_S2_PiS2_S5_S5_d21rocsparse_index_base_imNS_24const_host_device_scalarIfEENS7_IdEENS7_IS3_EEb: ; @_ZN9rocsparseL12csrilu0_hashILj256ELj32ELj16EfEEviPKiS2_PT2_S2_PiS2_S5_S5_d21rocsparse_index_base_imNS_24const_host_device_scalarIfEENS7_IdEENS7_IS3_EEb
; %bb.0:
	s_load_dword s0, s[4:5], 0x78
	s_load_dwordx2 s[2:3], s[4:5], 0x50
	s_load_dwordx8 s[24:31], s[4:5], 0x58
	s_waitcnt lgkmcnt(0)
	s_bitcmp1_b32 s0, 0
	s_cselect_b64 s[0:1], -1, 0
	s_cmp_eq_u32 s3, 0
	s_cselect_b64 s[8:9], -1, 0
	s_cmp_lg_u32 s3, 0
	s_cselect_b64 s[34:35], -1, 0
	s_or_b64 s[0:1], s[8:9], s[0:1]
	s_xor_b64 s[10:11], s[0:1], -1
	s_and_b64 s[12:13], s[8:9], exec
	s_cselect_b32 s13, 0, s29
	s_cselect_b32 s12, 0, s28
	s_and_b64 vcc, exec, s[0:1]
	s_cbranch_vccnz .LBB5_2
; %bb.1:
	s_load_dword s0, s[26:27], 0x0
	s_mov_b64 s[12:13], s[28:29]
	s_waitcnt lgkmcnt(0)
	v_mov_b32_e32 v14, s0
	s_branch .LBB5_3
.LBB5_2:
	v_mov_b32_e32 v1, s26
	v_cndmask_b32_e64 v14, v1, 0, s[8:9]
.LBB5_3:
	v_cndmask_b32_e64 v1, 0, 1, s[10:11]
	v_mov_b32_e32 v3, s12
	v_cmp_ne_u32_e64 s[0:1], 1, v1
	s_andn2_b64 vcc, exec, s[10:11]
	v_mov_b32_e32 v4, s13
	s_cbranch_vccnz .LBB5_5
; %bb.4:
	v_mov_b32_e32 v1, s28
	v_mov_b32_e32 v2, s29
	flat_load_dwordx2 v[3:4], v[1:2]
.LBB5_5:
	s_and_b64 vcc, exec, s[0:1]
	s_cbranch_vccnz .LBB5_7
; %bb.6:
	s_load_dword s0, s[30:31], 0x0
	s_waitcnt lgkmcnt(0)
	v_mov_b32_e32 v15, s0
	s_branch .LBB5_8
.LBB5_7:
	v_mov_b32_e32 v1, s30
	v_cndmask_b32_e64 v15, v1, 0, s[8:9]
.LBB5_8:
	v_and_b32_e32 v13, 31, v0
	v_lshrrev_b32_e32 v1, 5, v0
	v_lshlrev_b32_e32 v5, 11, v1
	v_lshlrev_b32_e32 v6, 2, v13
	s_movk_i32 s0, 0x4000
	v_or_b32_e32 v2, 0xffffffe0, v13
	v_or3_b32 v5, v5, v6, s0
	s_mov_b64 s[0:1], 0
	v_mov_b32_e32 v6, -1
	s_movk_i32 s3, 0x1df
.LBB5_9:                                ; =>This Inner Loop Header: Depth=1
	v_add_u32_e32 v2, 32, v2
	v_cmp_lt_u32_e32 vcc, s3, v2
	ds_write_b32 v5, v6
	s_or_b64 s[0:1], vcc, s[0:1]
	v_add_u32_e32 v5, 0x80, v5
	s_andn2_b64 exec, exec, s[0:1]
	s_cbranch_execnz .LBB5_9
; %bb.10:
	s_or_b64 exec, exec, s[0:1]
	s_load_dword s0, s[4:5], 0x0
	s_lshl_b32 s1, s6, 3
	s_and_b32 s1, s1, 0x7fffff8
	v_or_b32_e32 v1, s1, v1
	s_waitcnt lgkmcnt(0)
	v_cmp_gt_i32_e32 vcc, s0, v1
	s_and_saveexec_b64 s[0:1], vcc
	s_cbranch_execz .LBB5_82
; %bb.11:
	s_load_dwordx16 s[8:23], s[4:5], 0x8
	v_lshlrev_b32_e32 v1, 2, v1
	v_lshlrev_b32_e32 v0, 6, v0
	v_and_b32_e32 v0, 0x3800, v0
	v_or_b32_e32 v16, 0x4000, v0
	s_waitcnt lgkmcnt(0)
	global_load_dword v5, v1, s[18:19]
	v_mov_b32_e32 v7, s9
	v_mov_b32_e32 v10, s15
	s_waitcnt vmcnt(0)
	v_ashrrev_i32_e32 v6, 31, v5
	v_lshlrev_b64 v[1:2], 2, v[5:6]
	v_add_co_u32_e32 v6, vcc, s8, v1
	v_addc_co_u32_e32 v7, vcc, v7, v2, vcc
	global_load_dwordx2 v[7:8], v[6:7], off
	v_add_co_u32_e32 v9, vcc, s14, v1
	v_addc_co_u32_e32 v10, vcc, v10, v2, vcc
	global_load_dword v6, v[9:10], off
	s_waitcnt vmcnt(1)
	v_subrev_u32_e32 v7, s2, v7
	v_subrev_u32_e32 v10, s2, v8
	v_add_u32_e32 v8, v7, v13
	v_cmp_lt_i32_e32 vcc, v8, v10
	s_and_saveexec_b64 s[0:1], vcc
	s_cbranch_execz .LBB5_34
; %bb.12:
	s_mov_b64 s[6:7], 0
	v_mov_b32_e32 v11, s11
	s_movk_i32 s3, 0x67
	v_mov_b32_e32 v12, -1
	s_branch .LBB5_14
.LBB5_13:                               ;   in Loop: Header=BB5_14 Depth=1
	s_or_b64 exec, exec, s[18:19]
	v_add_u32_e32 v8, 32, v8
	v_cmp_ge_i32_e32 vcc, v8, v10
	s_or_b64 s[6:7], vcc, s[6:7]
	s_andn2_b64 exec, exec, s[6:7]
	s_cbranch_execz .LBB5_34
.LBB5_14:                               ; =>This Loop Header: Depth=1
                                        ;     Child Loop BB5_23 Depth 2
	v_ashrrev_i32_e32 v9, 31, v8
	v_lshlrev_b64 v[17:18], 2, v[8:9]
	s_mov_b64 s[26:27], 0
	v_add_co_u32_e32 v17, vcc, s10, v17
	v_addc_co_u32_e32 v18, vcc, v11, v18, vcc
	global_load_dword v9, v[17:18], off
	v_mov_b32_e32 v17, 0x200
                                        ; implicit-def: $sgpr18_sgpr19
                                        ; implicit-def: $sgpr28_sgpr29
                                        ; implicit-def: $sgpr30_sgpr31
	s_waitcnt vmcnt(0)
	v_mul_lo_u32 v19, v9, s3
	s_branch .LBB5_23
.LBB5_15:                               ;   in Loop: Header=BB5_23 Depth=2
	s_or_b64 exec, exec, s[54:55]
	s_orn2_b64 s[50:51], s[50:51], exec
	s_orn2_b64 s[52:53], s[52:53], exec
.LBB5_16:                               ;   in Loop: Header=BB5_23 Depth=2
	s_or_b64 exec, exec, s[48:49]
	s_and_b64 s[50:51], s[50:51], exec
	s_orn2_b64 s[48:49], s[52:53], exec
.LBB5_17:                               ;   in Loop: Header=BB5_23 Depth=2
	s_or_b64 exec, exec, s[46:47]
	s_orn2_b64 s[50:51], s[50:51], exec
	s_orn2_b64 s[46:47], s[48:49], exec
.LBB5_18:                               ;   in Loop: Header=BB5_23 Depth=2
	s_or_b64 exec, exec, s[44:45]
	s_and_b64 s[48:49], s[50:51], exec
	s_orn2_b64 s[44:45], s[46:47], exec
.LBB5_19:                               ;   in Loop: Header=BB5_23 Depth=2
	s_or_b64 exec, exec, s[42:43]
	s_orn2_b64 s[42:43], s[48:49], exec
	s_orn2_b64 s[44:45], s[44:45], exec
.LBB5_20:                               ;   in Loop: Header=BB5_23 Depth=2
	s_or_b64 exec, exec, s[40:41]
	s_and_b64 s[42:43], s[42:43], exec
	s_orn2_b64 s[40:41], s[44:45], exec
.LBB5_21:                               ;   in Loop: Header=BB5_23 Depth=2
	s_or_b64 exec, exec, s[38:39]
	s_andn2_b64 s[30:31], s[30:31], exec
	s_and_b64 s[38:39], s[42:43], exec
	s_or_b64 s[30:31], s[30:31], s[38:39]
	s_andn2_b64 s[28:29], s[28:29], exec
	s_and_b64 s[38:39], s[40:41], exec
	s_or_b64 s[28:29], s[28:29], s[38:39]
.LBB5_22:                               ;   in Loop: Header=BB5_23 Depth=2
	s_or_b64 exec, exec, s[36:37]
	s_and_b64 s[36:37], exec, s[28:29]
	s_or_b64 s[26:27], s[36:37], s[26:27]
	s_andn2_b64 s[18:19], s[18:19], exec
	s_and_b64 s[36:37], s[30:31], exec
	s_or_b64 s[18:19], s[18:19], s[36:37]
	s_andn2_b64 exec, exec, s[26:27]
	s_cbranch_execz .LBB5_32
.LBB5_23:                               ;   Parent Loop BB5_14 Depth=1
                                        ; =>  This Inner Loop Header: Depth=2
	v_and_b32_e32 v18, 0x1ff, v19
	v_lshl_add_u32 v20, v18, 2, v16
	ds_read_b32 v21, v20
	s_or_b64 s[30:31], s[30:31], exec
	s_or_b64 s[28:29], s[28:29], exec
	s_waitcnt lgkmcnt(0)
	v_cmp_ne_u32_e32 vcc, v21, v9
	s_and_saveexec_b64 s[36:37], vcc
	s_cbranch_execz .LBB5_22
; %bb.24:                               ;   in Loop: Header=BB5_23 Depth=2
	ds_cmpst_rtn_b32 v20, v20, v12, v9
	s_mov_b64 s[40:41], -1
	s_mov_b64 s[42:43], 0
	s_waitcnt lgkmcnt(0)
	v_cmp_ne_u32_e32 vcc, -1, v20
	s_and_saveexec_b64 s[38:39], vcc
	s_cbranch_execz .LBB5_21
; %bb.25:                               ;   in Loop: Header=BB5_23 Depth=2
	v_add_u32_e32 v18, 1, v19
	v_and_b32_e32 v18, 0x1ff, v18
	v_lshl_add_u32 v20, v18, 2, v16
	ds_read_b32 v21, v20
	s_mov_b64 s[44:45], -1
	s_mov_b64 s[42:43], -1
	s_waitcnt lgkmcnt(0)
	v_cmp_ne_u32_e32 vcc, v21, v9
	s_and_saveexec_b64 s[40:41], vcc
	s_cbranch_execz .LBB5_20
; %bb.26:                               ;   in Loop: Header=BB5_23 Depth=2
	ds_cmpst_rtn_b32 v20, v20, v12, v9
	s_mov_b64 s[48:49], 0
	s_waitcnt lgkmcnt(0)
	v_cmp_ne_u32_e32 vcc, -1, v20
	s_and_saveexec_b64 s[42:43], vcc
	s_cbranch_execz .LBB5_19
; %bb.27:                               ;   in Loop: Header=BB5_23 Depth=2
	v_add_u32_e32 v18, 2, v19
	v_and_b32_e32 v18, 0x1ff, v18
	v_lshl_add_u32 v20, v18, 2, v16
	ds_read_b32 v21, v20
	s_mov_b64 s[46:47], -1
	s_mov_b64 s[50:51], -1
	s_waitcnt lgkmcnt(0)
	v_cmp_ne_u32_e32 vcc, v21, v9
	s_and_saveexec_b64 s[44:45], vcc
	s_cbranch_execz .LBB5_18
; %bb.28:                               ;   in Loop: Header=BB5_23 Depth=2
	ds_cmpst_rtn_b32 v20, v20, v12, v9
	s_mov_b64 s[48:49], -1
	s_mov_b64 s[50:51], 0
	s_waitcnt lgkmcnt(0)
	v_cmp_ne_u32_e32 vcc, -1, v20
	s_and_saveexec_b64 s[46:47], vcc
	s_cbranch_execz .LBB5_17
; %bb.29:                               ;   in Loop: Header=BB5_23 Depth=2
	v_add_u32_e32 v18, 3, v19
	v_and_b32_e32 v18, 0x1ff, v18
	v_lshl_add_u32 v20, v18, 2, v16
	ds_read_b32 v19, v20
	s_mov_b64 s[52:53], -1
	s_mov_b64 s[50:51], -1
	s_waitcnt lgkmcnt(0)
	v_cmp_ne_u32_e32 vcc, v19, v9
                                        ; implicit-def: $vgpr19
	s_and_saveexec_b64 s[48:49], vcc
	s_cbranch_execz .LBB5_16
; %bb.30:                               ;   in Loop: Header=BB5_23 Depth=2
	ds_cmpst_rtn_b32 v19, v20, v12, v9
	s_mov_b64 s[50:51], 0
	s_waitcnt lgkmcnt(0)
	v_cmp_ne_u32_e32 vcc, -1, v19
                                        ; implicit-def: $vgpr19
	s_and_saveexec_b64 s[54:55], vcc
	s_cbranch_execz .LBB5_15
; %bb.31:                               ;   in Loop: Header=BB5_23 Depth=2
	v_add_u32_e32 v17, -4, v17
	v_cmp_eq_u32_e32 vcc, 0, v17
	s_mov_b64 s[50:51], exec
	v_add_u32_e32 v19, 1, v18
	s_orn2_b64 s[52:53], vcc, exec
	s_branch .LBB5_15
.LBB5_32:                               ;   in Loop: Header=BB5_14 Depth=1
	s_or_b64 exec, exec, s[26:27]
	s_xor_b64 s[18:19], s[18:19], -1
	s_and_saveexec_b64 s[26:27], s[18:19]
	s_xor_b64 s[18:19], exec, s[26:27]
	s_cbranch_execz .LBB5_13
; %bb.33:                               ;   in Loop: Header=BB5_14 Depth=1
	v_lshl_add_u32 v9, v18, 2, v0
	ds_write_b32 v9, v8
	s_branch .LBB5_13
.LBB5_34:
	s_or_b64 exec, exec, s[0:1]
	s_waitcnt vmcnt(0)
	v_cmp_lt_i32_e32 vcc, v7, v6
	s_waitcnt lgkmcnt(0)
	s_and_saveexec_b64 s[0:1], vcc
	s_cbranch_execz .LBB5_64
; %bb.35:
	v_add_u32_e32 v17, 1, v13
	s_mov_b64 s[6:7], 0
	v_mov_b32_e32 v18, s11
	v_mov_b32_e32 v19, s13
	;; [unrolled: 1-line block ×5, first 2 shown]
	s_movk_i32 s3, 0x67
	s_branch .LBB5_38
.LBB5_36:                               ;   in Loop: Header=BB5_38 Depth=1
	s_or_b64 exec, exec, s[26:27]
	v_add_u32_e32 v7, 1, v7
	v_cmp_ge_i32_e32 vcc, v7, v6
	s_orn2_b64 s[26:27], vcc, exec
.LBB5_37:                               ;   in Loop: Header=BB5_38 Depth=1
	s_or_b64 exec, exec, s[18:19]
	s_and_b64 s[18:19], exec, s[26:27]
	s_or_b64 s[6:7], s[18:19], s[6:7]
	s_andn2_b64 exec, exec, s[6:7]
	s_cbranch_execz .LBB5_64
.LBB5_38:                               ; =>This Loop Header: Depth=1
                                        ;     Child Loop BB5_39 Depth 2
                                        ;     Child Loop BB5_44 Depth 2
                                        ;       Child Loop BB5_53 Depth 3
	v_ashrrev_i32_e32 v8, 31, v7
	v_lshlrev_b64 v[9:10], 2, v[7:8]
	s_mov_b64 s[18:19], 0
	v_add_co_u32_e32 v11, vcc, s10, v9
	v_addc_co_u32_e32 v12, vcc, v18, v10, vcc
	global_load_dword v8, v[11:12], off
	v_add_co_u32_e32 v9, vcc, s12, v9
	v_addc_co_u32_e32 v10, vcc, v19, v10, vcc
	global_load_dword v24, v[9:10], off
	s_waitcnt vmcnt(1)
	v_subrev_u32_e32 v11, s2, v8
	v_ashrrev_i32_e32 v12, 31, v11
	v_lshlrev_b64 v[11:12], 2, v[11:12]
	v_add_co_u32_e32 v26, vcc, s8, v11
	v_addc_co_u32_e32 v27, vcc, v20, v12, vcc
	v_add_co_u32_e32 v28, vcc, s14, v11
	v_addc_co_u32_e32 v29, vcc, v21, v12, vcc
	global_load_dword v8, v[26:27], off offset:4
	global_load_dword v25, v[28:29], off
	v_add_co_u32_e32 v11, vcc, s16, v11
	v_addc_co_u32_e32 v12, vcc, v22, v12, vcc
.LBB5_39:                               ;   Parent Loop BB5_38 Depth=1
                                        ; =>  This Inner Loop Header: Depth=2
	global_load_dword v23, v[11:12], off glc
	s_waitcnt vmcnt(0)
	v_cmp_ne_u32_e32 vcc, 0, v23
	s_or_b64 s[18:19], vcc, s[18:19]
	s_andn2_b64 exec, exec, s[18:19]
	s_cbranch_execnz .LBB5_39
; %bb.40:                               ;   in Loop: Header=BB5_38 Depth=1
	s_or_b64 exec, exec, s[18:19]
	v_subrev_u32_e32 v23, s2, v8
	v_add_u32_e32 v8, -1, v23
	v_cmp_eq_u32_e32 vcc, -1, v25
	v_cndmask_b32_e32 v11, v25, v8, vcc
	v_ashrrev_i32_e32 v12, 31, v11
	v_lshlrev_b64 v[25:26], 2, v[11:12]
	buffer_wbinvl1_vol
	v_add_co_u32_e32 v25, vcc, s12, v25
	v_addc_co_u32_e32 v26, vcc, v19, v26, vcc
	global_load_dword v12, v[25:26], off
	s_mov_b64 s[26:27], -1
	s_waitcnt vmcnt(0)
	v_cmp_neq_f32_e32 vcc, 0, v12
	s_and_saveexec_b64 s[18:19], vcc
	s_cbranch_execz .LBB5_37
; %bb.41:                               ;   in Loop: Header=BB5_38 Depth=1
	v_div_scale_f32 v8, s[26:27], v12, v12, v24
	v_div_scale_f32 v25, vcc, v24, v12, v24
	v_rcp_f32_e32 v26, v8
	v_fma_f32 v27, -v8, v26, 1.0
	v_fmac_f32_e32 v26, v27, v26
	v_mul_f32_e32 v27, v25, v26
	v_fma_f32 v28, -v8, v27, v25
	v_fmac_f32_e32 v27, v28, v26
	v_fma_f32 v8, -v8, v27, v25
	v_div_fmas_f32 v25, v8, v26, v27
	v_add_u32_e32 v8, v17, v11
	v_cmp_lt_i32_e32 vcc, v8, v23
	v_div_fixup_f32 v11, v25, v12, v24
	global_store_dword v[9:10], v11, off
	s_and_saveexec_b64 s[26:27], vcc
	s_cbranch_execz .LBB5_36
; %bb.42:                               ;   in Loop: Header=BB5_38 Depth=1
	s_mov_b64 s[28:29], 0
	s_branch .LBB5_44
.LBB5_43:                               ;   in Loop: Header=BB5_44 Depth=2
	s_or_b64 exec, exec, s[30:31]
	v_add_u32_e32 v8, 32, v8
	v_cmp_ge_i32_e32 vcc, v8, v23
	s_or_b64 s[28:29], vcc, s[28:29]
	s_andn2_b64 exec, exec, s[28:29]
	s_cbranch_execz .LBB5_36
.LBB5_44:                               ;   Parent Loop BB5_38 Depth=1
                                        ; =>  This Loop Header: Depth=2
                                        ;       Child Loop BB5_53 Depth 3
	v_ashrrev_i32_e32 v9, 31, v8
	v_lshlrev_b64 v[9:10], 2, v[8:9]
	s_mov_b64 s[36:37], 0
	v_add_co_u32_e32 v24, vcc, s10, v9
	v_addc_co_u32_e32 v25, vcc, v18, v10, vcc
	global_load_dword v12, v[24:25], off
	v_mov_b32_e32 v24, 0x200
                                        ; implicit-def: $sgpr30_sgpr31
                                        ; implicit-def: $sgpr38_sgpr39
                                        ; implicit-def: $sgpr40_sgpr41
	s_waitcnt vmcnt(0)
	v_mul_lo_u32 v26, v12, s3
	s_branch .LBB5_53
.LBB5_45:                               ;   in Loop: Header=BB5_53 Depth=3
	s_or_b64 exec, exec, s[60:61]
	s_orn2_b64 s[56:57], s[56:57], exec
	s_orn2_b64 s[58:59], s[58:59], exec
.LBB5_46:                               ;   in Loop: Header=BB5_53 Depth=3
	s_or_b64 exec, exec, s[54:55]
	s_and_b64 s[56:57], s[56:57], exec
	s_orn2_b64 s[54:55], s[58:59], exec
.LBB5_47:                               ;   in Loop: Header=BB5_53 Depth=3
	s_or_b64 exec, exec, s[52:53]
	s_orn2_b64 s[56:57], s[56:57], exec
	s_orn2_b64 s[52:53], s[54:55], exec
.LBB5_48:                               ;   in Loop: Header=BB5_53 Depth=3
	s_or_b64 exec, exec, s[50:51]
	s_and_b64 s[54:55], s[56:57], exec
	s_orn2_b64 s[50:51], s[52:53], exec
.LBB5_49:                               ;   in Loop: Header=BB5_53 Depth=3
	s_or_b64 exec, exec, s[48:49]
	s_orn2_b64 s[48:49], s[54:55], exec
	s_orn2_b64 s[50:51], s[50:51], exec
.LBB5_50:                               ;   in Loop: Header=BB5_53 Depth=3
	s_or_b64 exec, exec, s[46:47]
	s_and_b64 s[48:49], s[48:49], exec
	s_orn2_b64 s[46:47], s[50:51], exec
.LBB5_51:                               ;   in Loop: Header=BB5_53 Depth=3
	s_or_b64 exec, exec, s[44:45]
	s_andn2_b64 s[40:41], s[40:41], exec
	s_and_b64 s[44:45], s[48:49], exec
	s_or_b64 s[40:41], s[40:41], s[44:45]
	s_andn2_b64 s[38:39], s[38:39], exec
	s_and_b64 s[44:45], s[46:47], exec
	s_or_b64 s[38:39], s[38:39], s[44:45]
.LBB5_52:                               ;   in Loop: Header=BB5_53 Depth=3
	s_or_b64 exec, exec, s[42:43]
	s_and_b64 s[42:43], exec, s[38:39]
	s_or_b64 s[36:37], s[42:43], s[36:37]
	s_andn2_b64 s[30:31], s[30:31], exec
	s_and_b64 s[42:43], s[40:41], exec
	s_or_b64 s[30:31], s[30:31], s[42:43]
	s_andn2_b64 exec, exec, s[36:37]
	s_cbranch_execz .LBB5_62
.LBB5_53:                               ;   Parent Loop BB5_38 Depth=1
                                        ;     Parent Loop BB5_44 Depth=2
                                        ; =>    This Inner Loop Header: Depth=3
	v_and_b32_e32 v25, 0x1ff, v26
	v_lshl_add_u32 v27, v25, 2, v16
	ds_read_b32 v27, v27
	s_or_b64 s[40:41], s[40:41], exec
	s_or_b64 s[38:39], s[38:39], exec
	s_waitcnt lgkmcnt(0)
	v_cmp_ne_u32_e32 vcc, -1, v27
	s_and_saveexec_b64 s[42:43], vcc
	s_cbranch_execz .LBB5_52
; %bb.54:                               ;   in Loop: Header=BB5_53 Depth=3
	v_cmp_ne_u32_e32 vcc, v27, v12
	s_mov_b64 s[46:47], -1
	s_mov_b64 s[48:49], 0
	s_and_saveexec_b64 s[44:45], vcc
	s_cbranch_execz .LBB5_51
; %bb.55:                               ;   in Loop: Header=BB5_53 Depth=3
	v_add_u32_e32 v25, 1, v26
	v_and_b32_e32 v25, 0x1ff, v25
	v_lshl_add_u32 v27, v25, 2, v16
	ds_read_b32 v27, v27
	s_mov_b64 s[50:51], -1
	s_mov_b64 s[48:49], -1
	s_waitcnt lgkmcnt(0)
	v_cmp_ne_u32_e32 vcc, -1, v27
	s_and_saveexec_b64 s[46:47], vcc
	s_cbranch_execz .LBB5_50
; %bb.56:                               ;   in Loop: Header=BB5_53 Depth=3
	v_cmp_ne_u32_e32 vcc, v27, v12
	s_mov_b64 s[54:55], 0
	s_and_saveexec_b64 s[48:49], vcc
	s_cbranch_execz .LBB5_49
; %bb.57:                               ;   in Loop: Header=BB5_53 Depth=3
	v_add_u32_e32 v25, 2, v26
	v_and_b32_e32 v25, 0x1ff, v25
	v_lshl_add_u32 v27, v25, 2, v16
	ds_read_b32 v27, v27
	s_mov_b64 s[52:53], -1
	s_mov_b64 s[56:57], -1
	s_waitcnt lgkmcnt(0)
	v_cmp_ne_u32_e32 vcc, -1, v27
	s_and_saveexec_b64 s[50:51], vcc
	s_cbranch_execz .LBB5_48
; %bb.58:                               ;   in Loop: Header=BB5_53 Depth=3
	v_cmp_ne_u32_e32 vcc, v27, v12
	s_mov_b64 s[54:55], -1
	s_mov_b64 s[56:57], 0
	s_and_saveexec_b64 s[52:53], vcc
	s_cbranch_execz .LBB5_47
; %bb.59:                               ;   in Loop: Header=BB5_53 Depth=3
	v_add_u32_e32 v25, 3, v26
	v_and_b32_e32 v25, 0x1ff, v25
	v_lshl_add_u32 v26, v25, 2, v16
	ds_read_b32 v27, v26
	s_mov_b64 s[58:59], -1
	s_mov_b64 s[56:57], -1
                                        ; implicit-def: $vgpr26
	s_waitcnt lgkmcnt(0)
	v_cmp_ne_u32_e32 vcc, -1, v27
	s_and_saveexec_b64 s[54:55], vcc
	s_cbranch_execz .LBB5_46
; %bb.60:                               ;   in Loop: Header=BB5_53 Depth=3
	v_cmp_ne_u32_e32 vcc, v27, v12
	s_mov_b64 s[56:57], 0
                                        ; implicit-def: $vgpr26
	s_and_saveexec_b64 s[60:61], vcc
	s_cbranch_execz .LBB5_45
; %bb.61:                               ;   in Loop: Header=BB5_53 Depth=3
	v_add_u32_e32 v24, -4, v24
	v_cmp_eq_u32_e32 vcc, 0, v24
	s_mov_b64 s[56:57], exec
	v_add_u32_e32 v26, 1, v25
	s_orn2_b64 s[58:59], vcc, exec
	s_branch .LBB5_45
.LBB5_62:                               ;   in Loop: Header=BB5_44 Depth=2
	s_or_b64 exec, exec, s[36:37]
	s_xor_b64 s[30:31], s[30:31], -1
	s_and_saveexec_b64 s[36:37], s[30:31]
	s_xor_b64 s[30:31], exec, s[36:37]
	s_cbranch_execz .LBB5_43
; %bb.63:                               ;   in Loop: Header=BB5_44 Depth=2
	v_lshl_add_u32 v12, v25, 2, v0
	ds_read_b32 v24, v12
	v_add_co_u32_e32 v9, vcc, s12, v9
	v_addc_co_u32_e32 v10, vcc, v19, v10, vcc
	s_waitcnt lgkmcnt(0)
	v_ashrrev_i32_e32 v25, 31, v24
	v_lshlrev_b64 v[24:25], 2, v[24:25]
	v_add_co_u32_e32 v24, vcc, s12, v24
	v_addc_co_u32_e32 v25, vcc, v19, v25, vcc
	global_load_dword v12, v[9:10], off
	global_load_dword v26, v[24:25], off
	s_waitcnt vmcnt(0)
	v_fma_f32 v9, -v11, v12, v26
	global_store_dword v[24:25], v9, off
	s_branch .LBB5_43
.LBB5_64:
	s_or_b64 exec, exec, s[0:1]
	v_cmp_lt_i32_e32 vcc, -1, v6
	s_and_saveexec_b64 s[6:7], vcc
	s_cbranch_execz .LBB5_80
; %bb.65:
	v_mov_b32_e32 v7, 0
	v_lshlrev_b64 v[6:7], 2, v[6:7]
	v_mov_b32_e32 v0, s13
	v_add_co_u32_e32 v8, vcc, s12, v6
	v_addc_co_u32_e32 v9, vcc, v0, v7, vcc
	global_load_dword v0, v[8:9], off
	v_cmp_eq_u32_e64 s[0:1], 0, v13
	s_mov_b64 s[8:9], -1
	s_waitcnt vmcnt(0)
	v_cmp_gt_f32_e32 vcc, 0, v0
	v_cndmask_b32_e64 v6, v0, -v0, vcc
	v_cvt_f64_f32_e32 v[6:7], v6
	s_andn2_b64 vcc, exec, s[34:35]
	s_cbranch_vccnz .LBB5_69
; %bb.66:
	v_cvt_f64_f32_e32 v[10:11], v14
	s_cmp_eq_u64 s[24:25], 8
	s_cselect_b64 vcc, -1, 0
	v_cndmask_b32_e32 v4, v11, v4, vcc
	v_cndmask_b32_e32 v3, v10, v3, vcc
	v_cmp_ge_f64_e32 vcc, v[3:4], v[6:7]
	s_and_b64 s[10:11], s[0:1], vcc
	s_and_saveexec_b64 s[8:9], s[10:11]
	s_cbranch_execz .LBB5_68
; %bb.67:
	global_store_dword v[8:9], v15, off
	s_waitcnt vmcnt(0)
	buffer_wbinvl1_vol
.LBB5_68:
	s_or_b64 exec, exec, s[8:9]
	s_mov_b64 s[8:9], 0
.LBB5_69:
	s_andn2_b64 vcc, exec, s[8:9]
	s_cbranch_vccnz .LBB5_80
; %bb.70:
	s_load_dwordx2 s[4:5], s[4:5], 0x48
	v_add_u32_e32 v3, s2, v5
	s_waitcnt lgkmcnt(0)
	v_cmp_ge_f64_e32 vcc, s[4:5], v[6:7]
	s_and_b64 s[4:5], s[0:1], vcc
	s_and_saveexec_b64 s[2:3], s[4:5]
	s_cbranch_execz .LBB5_75
; %bb.71:
	s_mov_b64 s[4:5], exec
	s_brev_b32 s8, -2
.LBB5_72:                               ; =>This Inner Loop Header: Depth=1
	s_ff1_i32_b64 s9, s[4:5]
	v_readlane_b32 s12, v3, s9
	s_lshl_b64 s[10:11], 1, s9
	s_min_i32 s8, s8, s12
	s_andn2_b64 s[4:5], s[4:5], s[10:11]
	s_cmp_lg_u64 s[4:5], 0
	s_cbranch_scc1 .LBB5_72
; %bb.73:
	v_mbcnt_lo_u32_b32 v4, exec_lo, 0
	v_mbcnt_hi_u32_b32 v4, exec_hi, v4
	v_cmp_eq_u32_e32 vcc, 0, v4
	s_and_saveexec_b64 s[4:5], vcc
	s_xor_b64 s[4:5], exec, s[4:5]
	s_cbranch_execz .LBB5_75
; %bb.74:
	v_mov_b32_e32 v4, 0
	v_mov_b32_e32 v5, s8
	global_atomic_smin v4, v5, s[22:23]
.LBB5_75:
	s_or_b64 exec, exec, s[2:3]
	v_cmp_eq_f32_e32 vcc, 0, v0
	s_and_b64 s[0:1], s[0:1], vcc
	s_and_b64 exec, exec, s[0:1]
	s_cbranch_execz .LBB5_80
; %bb.76:
	s_mov_b64 s[0:1], exec
	s_brev_b32 s2, -2
.LBB5_77:                               ; =>This Inner Loop Header: Depth=1
	s_ff1_i32_b64 s3, s[0:1]
	v_readlane_b32 s8, v3, s3
	s_lshl_b64 s[4:5], 1, s3
	s_min_i32 s2, s2, s8
	s_andn2_b64 s[0:1], s[0:1], s[4:5]
	s_cmp_lg_u64 s[0:1], 0
	s_cbranch_scc1 .LBB5_77
; %bb.78:
	v_mbcnt_lo_u32_b32 v0, exec_lo, 0
	v_mbcnt_hi_u32_b32 v0, exec_hi, v0
	v_cmp_eq_u32_e32 vcc, 0, v0
	s_and_saveexec_b64 s[0:1], vcc
	s_xor_b64 s[0:1], exec, s[0:1]
	s_cbranch_execz .LBB5_80
; %bb.79:
	v_mov_b32_e32 v0, 0
	v_mov_b32_e32 v3, s2
	global_atomic_smin v0, v3, s[20:21]
.LBB5_80:
	s_or_b64 exec, exec, s[6:7]
	v_cmp_eq_u32_e32 vcc, 0, v13
	s_waitcnt vmcnt(0)
	buffer_wbinvl1_vol
	s_and_b64 exec, exec, vcc
	s_cbranch_execz .LBB5_82
; %bb.81:
	v_mov_b32_e32 v3, s17
	v_add_co_u32_e32 v0, vcc, s16, v1
	v_addc_co_u32_e32 v1, vcc, v3, v2, vcc
	v_mov_b32_e32 v2, 1
	global_store_dword v[0:1], v2, off
.LBB5_82:
	s_endpgm
	.section	.rodata,"a",@progbits
	.p2align	6, 0x0
	.amdhsa_kernel _ZN9rocsparseL12csrilu0_hashILj256ELj32ELj16EfEEviPKiS2_PT2_S2_PiS2_S5_S5_d21rocsparse_index_base_imNS_24const_host_device_scalarIfEENS7_IdEENS7_IS3_EEb
		.amdhsa_group_segment_fixed_size 32768
		.amdhsa_private_segment_fixed_size 0
		.amdhsa_kernarg_size 124
		.amdhsa_user_sgpr_count 6
		.amdhsa_user_sgpr_private_segment_buffer 1
		.amdhsa_user_sgpr_dispatch_ptr 0
		.amdhsa_user_sgpr_queue_ptr 0
		.amdhsa_user_sgpr_kernarg_segment_ptr 1
		.amdhsa_user_sgpr_dispatch_id 0
		.amdhsa_user_sgpr_flat_scratch_init 0
		.amdhsa_user_sgpr_private_segment_size 0
		.amdhsa_uses_dynamic_stack 0
		.amdhsa_system_sgpr_private_segment_wavefront_offset 0
		.amdhsa_system_sgpr_workgroup_id_x 1
		.amdhsa_system_sgpr_workgroup_id_y 0
		.amdhsa_system_sgpr_workgroup_id_z 0
		.amdhsa_system_sgpr_workgroup_info 0
		.amdhsa_system_vgpr_workitem_id 0
		.amdhsa_next_free_vgpr 85
		.amdhsa_next_free_sgpr 98
		.amdhsa_reserve_vcc 1
		.amdhsa_reserve_flat_scratch 0
		.amdhsa_float_round_mode_32 0
		.amdhsa_float_round_mode_16_64 0
		.amdhsa_float_denorm_mode_32 3
		.amdhsa_float_denorm_mode_16_64 3
		.amdhsa_dx10_clamp 1
		.amdhsa_ieee_mode 1
		.amdhsa_fp16_overflow 0
		.amdhsa_exception_fp_ieee_invalid_op 0
		.amdhsa_exception_fp_denorm_src 0
		.amdhsa_exception_fp_ieee_div_zero 0
		.amdhsa_exception_fp_ieee_overflow 0
		.amdhsa_exception_fp_ieee_underflow 0
		.amdhsa_exception_fp_ieee_inexact 0
		.amdhsa_exception_int_div_zero 0
	.end_amdhsa_kernel
	.section	.text._ZN9rocsparseL12csrilu0_hashILj256ELj32ELj16EfEEviPKiS2_PT2_S2_PiS2_S5_S5_d21rocsparse_index_base_imNS_24const_host_device_scalarIfEENS7_IdEENS7_IS3_EEb,"axG",@progbits,_ZN9rocsparseL12csrilu0_hashILj256ELj32ELj16EfEEviPKiS2_PT2_S2_PiS2_S5_S5_d21rocsparse_index_base_imNS_24const_host_device_scalarIfEENS7_IdEENS7_IS3_EEb,comdat
.Lfunc_end5:
	.size	_ZN9rocsparseL12csrilu0_hashILj256ELj32ELj16EfEEviPKiS2_PT2_S2_PiS2_S5_S5_d21rocsparse_index_base_imNS_24const_host_device_scalarIfEENS7_IdEENS7_IS3_EEb, .Lfunc_end5-_ZN9rocsparseL12csrilu0_hashILj256ELj32ELj16EfEEviPKiS2_PT2_S2_PiS2_S5_S5_d21rocsparse_index_base_imNS_24const_host_device_scalarIfEENS7_IdEENS7_IS3_EEb
                                        ; -- End function
	.set _ZN9rocsparseL12csrilu0_hashILj256ELj32ELj16EfEEviPKiS2_PT2_S2_PiS2_S5_S5_d21rocsparse_index_base_imNS_24const_host_device_scalarIfEENS7_IdEENS7_IS3_EEb.num_vgpr, 30
	.set _ZN9rocsparseL12csrilu0_hashILj256ELj32ELj16EfEEviPKiS2_PT2_S2_PiS2_S5_S5_d21rocsparse_index_base_imNS_24const_host_device_scalarIfEENS7_IdEENS7_IS3_EEb.num_agpr, 0
	.set _ZN9rocsparseL12csrilu0_hashILj256ELj32ELj16EfEEviPKiS2_PT2_S2_PiS2_S5_S5_d21rocsparse_index_base_imNS_24const_host_device_scalarIfEENS7_IdEENS7_IS3_EEb.numbered_sgpr, 62
	.set _ZN9rocsparseL12csrilu0_hashILj256ELj32ELj16EfEEviPKiS2_PT2_S2_PiS2_S5_S5_d21rocsparse_index_base_imNS_24const_host_device_scalarIfEENS7_IdEENS7_IS3_EEb.num_named_barrier, 0
	.set _ZN9rocsparseL12csrilu0_hashILj256ELj32ELj16EfEEviPKiS2_PT2_S2_PiS2_S5_S5_d21rocsparse_index_base_imNS_24const_host_device_scalarIfEENS7_IdEENS7_IS3_EEb.private_seg_size, 0
	.set _ZN9rocsparseL12csrilu0_hashILj256ELj32ELj16EfEEviPKiS2_PT2_S2_PiS2_S5_S5_d21rocsparse_index_base_imNS_24const_host_device_scalarIfEENS7_IdEENS7_IS3_EEb.uses_vcc, 1
	.set _ZN9rocsparseL12csrilu0_hashILj256ELj32ELj16EfEEviPKiS2_PT2_S2_PiS2_S5_S5_d21rocsparse_index_base_imNS_24const_host_device_scalarIfEENS7_IdEENS7_IS3_EEb.uses_flat_scratch, 0
	.set _ZN9rocsparseL12csrilu0_hashILj256ELj32ELj16EfEEviPKiS2_PT2_S2_PiS2_S5_S5_d21rocsparse_index_base_imNS_24const_host_device_scalarIfEENS7_IdEENS7_IS3_EEb.has_dyn_sized_stack, 0
	.set _ZN9rocsparseL12csrilu0_hashILj256ELj32ELj16EfEEviPKiS2_PT2_S2_PiS2_S5_S5_d21rocsparse_index_base_imNS_24const_host_device_scalarIfEENS7_IdEENS7_IS3_EEb.has_recursion, 0
	.set _ZN9rocsparseL12csrilu0_hashILj256ELj32ELj16EfEEviPKiS2_PT2_S2_PiS2_S5_S5_d21rocsparse_index_base_imNS_24const_host_device_scalarIfEENS7_IdEENS7_IS3_EEb.has_indirect_call, 0
	.section	.AMDGPU.csdata,"",@progbits
; Kernel info:
; codeLenInByte = 2556
; TotalNumSgprs: 66
; NumVgprs: 30
; ScratchSize: 0
; MemoryBound: 0
; FloatMode: 240
; IeeeMode: 1
; LDSByteSize: 32768 bytes/workgroup (compile time only)
; SGPRBlocks: 12
; VGPRBlocks: 21
; NumSGPRsForWavesPerEU: 102
; NumVGPRsForWavesPerEU: 85
; Occupancy: 2
; WaveLimiterHint : 1
; COMPUTE_PGM_RSRC2:SCRATCH_EN: 0
; COMPUTE_PGM_RSRC2:USER_SGPR: 6
; COMPUTE_PGM_RSRC2:TRAP_HANDLER: 0
; COMPUTE_PGM_RSRC2:TGID_X_EN: 1
; COMPUTE_PGM_RSRC2:TGID_Y_EN: 0
; COMPUTE_PGM_RSRC2:TGID_Z_EN: 0
; COMPUTE_PGM_RSRC2:TIDIG_COMP_CNT: 0
	.section	.text._ZN9rocsparseL17csrilu0_binsearchILj256ELj32ELb0EfEEviPKiS2_PT2_S2_PiS2_S5_S5_d21rocsparse_index_base_imNS_24const_host_device_scalarIfEENS7_IdEENS7_IS3_EEb,"axG",@progbits,_ZN9rocsparseL17csrilu0_binsearchILj256ELj32ELb0EfEEviPKiS2_PT2_S2_PiS2_S5_S5_d21rocsparse_index_base_imNS_24const_host_device_scalarIfEENS7_IdEENS7_IS3_EEb,comdat
	.globl	_ZN9rocsparseL17csrilu0_binsearchILj256ELj32ELb0EfEEviPKiS2_PT2_S2_PiS2_S5_S5_d21rocsparse_index_base_imNS_24const_host_device_scalarIfEENS7_IdEENS7_IS3_EEb ; -- Begin function _ZN9rocsparseL17csrilu0_binsearchILj256ELj32ELb0EfEEviPKiS2_PT2_S2_PiS2_S5_S5_d21rocsparse_index_base_imNS_24const_host_device_scalarIfEENS7_IdEENS7_IS3_EEb
	.p2align	8
	.type	_ZN9rocsparseL17csrilu0_binsearchILj256ELj32ELb0EfEEviPKiS2_PT2_S2_PiS2_S5_S5_d21rocsparse_index_base_imNS_24const_host_device_scalarIfEENS7_IdEENS7_IS3_EEb,@function
_ZN9rocsparseL17csrilu0_binsearchILj256ELj32ELb0EfEEviPKiS2_PT2_S2_PiS2_S5_S5_d21rocsparse_index_base_imNS_24const_host_device_scalarIfEENS7_IdEENS7_IS3_EEb: ; @_ZN9rocsparseL17csrilu0_binsearchILj256ELj32ELb0EfEEviPKiS2_PT2_S2_PiS2_S5_S5_d21rocsparse_index_base_imNS_24const_host_device_scalarIfEENS7_IdEENS7_IS3_EEb
; %bb.0:
	s_load_dword s0, s[4:5], 0x78
	s_load_dwordx2 s[2:3], s[4:5], 0x50
	s_load_dwordx8 s[24:31], s[4:5], 0x58
	s_waitcnt lgkmcnt(0)
	s_bitcmp1_b32 s0, 0
	s_cselect_b64 s[0:1], -1, 0
	s_cmp_eq_u32 s3, 0
	s_cselect_b64 s[8:9], -1, 0
	s_cmp_lg_u32 s3, 0
	s_cselect_b64 s[34:35], -1, 0
	s_or_b64 s[0:1], s[8:9], s[0:1]
	s_xor_b64 s[10:11], s[0:1], -1
	s_and_b64 s[12:13], s[8:9], exec
	s_cselect_b32 s13, 0, s29
	s_cselect_b32 s12, 0, s28
	s_and_b64 vcc, exec, s[0:1]
	s_cbranch_vccnz .LBB6_2
; %bb.1:
	s_load_dword s0, s[26:27], 0x0
	s_mov_b64 s[12:13], s[28:29]
	s_waitcnt lgkmcnt(0)
	v_mov_b32_e32 v15, s0
	s_branch .LBB6_3
.LBB6_2:
	v_mov_b32_e32 v1, s26
	v_cndmask_b32_e64 v15, v1, 0, s[8:9]
.LBB6_3:
	v_cndmask_b32_e64 v1, 0, 1, s[10:11]
	v_mov_b32_e32 v3, s12
	v_cmp_ne_u32_e64 s[0:1], 1, v1
	s_andn2_b64 vcc, exec, s[10:11]
	v_mov_b32_e32 v4, s13
	s_cbranch_vccnz .LBB6_5
; %bb.4:
	v_mov_b32_e32 v1, s28
	v_mov_b32_e32 v2, s29
	flat_load_dwordx2 v[3:4], v[1:2]
.LBB6_5:
	s_and_b64 vcc, exec, s[0:1]
	s_cbranch_vccnz .LBB6_7
; %bb.6:
	s_load_dword s0, s[30:31], 0x0
	s_waitcnt lgkmcnt(0)
	v_mov_b32_e32 v16, s0
	s_branch .LBB6_8
.LBB6_7:
	v_mov_b32_e32 v1, s30
	v_cndmask_b32_e64 v16, v1, 0, s[8:9]
.LBB6_8:
	s_load_dword s0, s[4:5], 0x0
	s_lshl_b32 s1, s6, 3
	v_lshrrev_b32_e32 v1, 5, v0
	s_and_b32 s1, s1, 0x7fffff8
	v_or_b32_e32 v1, s1, v1
	s_waitcnt lgkmcnt(0)
	v_cmp_gt_i32_e32 vcc, s0, v1
	s_and_saveexec_b64 s[0:1], vcc
	s_cbranch_execz .LBB6_44
; %bb.9:
	s_load_dwordx16 s[8:23], s[4:5], 0x8
	v_lshlrev_b32_e32 v1, 2, v1
	v_and_b32_e32 v0, 31, v0
	s_waitcnt lgkmcnt(0)
	global_load_dword v5, v1, s[18:19]
	v_mov_b32_e32 v7, s15
	v_mov_b32_e32 v9, s9
	s_waitcnt vmcnt(0)
	v_ashrrev_i32_e32 v6, 31, v5
	v_lshlrev_b64 v[1:2], 2, v[5:6]
	v_add_co_u32_e32 v10, vcc, s14, v1
	v_addc_co_u32_e32 v11, vcc, v7, v2, vcc
	v_add_co_u32_e32 v8, vcc, s8, v1
	v_addc_co_u32_e32 v9, vcc, v9, v2, vcc
	global_load_dword v7, v[8:9], off
	global_load_dword v6, v[10:11], off
	s_waitcnt vmcnt(1)
	v_subrev_u32_e32 v7, s2, v7
	s_waitcnt vmcnt(0)
	v_cmp_lt_i32_e32 vcc, v7, v6
	s_and_saveexec_b64 s[0:1], vcc
	s_cbranch_execz .LBB6_26
; %bb.10:
	global_load_dword v8, v[8:9], off offset:4
	v_add_u32_e32 v17, 1, v0
	s_mov_b64 s[6:7], 0
	v_mov_b32_e32 v18, s11
	v_mov_b32_e32 v19, s13
	;; [unrolled: 1-line block ×5, first 2 shown]
	s_waitcnt vmcnt(0)
	v_xad_u32 v22, s2, -1, v8
	s_branch .LBB6_13
.LBB6_11:                               ;   in Loop: Header=BB6_13 Depth=1
	s_or_b64 exec, exec, s[26:27]
	v_cmp_ge_i32_e32 vcc, v7, v6
	s_orn2_b64 s[26:27], vcc, exec
.LBB6_12:                               ;   in Loop: Header=BB6_13 Depth=1
	s_or_b64 exec, exec, s[18:19]
	s_and_b64 s[18:19], exec, s[26:27]
	s_or_b64 s[6:7], s[18:19], s[6:7]
	s_andn2_b64 exec, exec, s[6:7]
	s_cbranch_execz .LBB6_26
.LBB6_13:                               ; =>This Loop Header: Depth=1
                                        ;     Child Loop BB6_15 Depth 2
                                        ;     Child Loop BB6_20 Depth 2
                                        ;       Child Loop BB6_22 Depth 3
	v_ashrrev_i32_e32 v8, 31, v7
	v_lshlrev_b64 v[9:10], 2, v[7:8]
	v_add_co_u32_e32 v11, vcc, s10, v9
	v_addc_co_u32_e32 v12, vcc, v18, v10, vcc
	global_load_dword v8, v[11:12], off
	v_add_co_u32_e32 v9, vcc, s12, v9
	v_addc_co_u32_e32 v10, vcc, v19, v10, vcc
	global_load_dword v13, v[9:10], off
	s_waitcnt vmcnt(1)
	v_subrev_u32_e32 v11, s2, v8
	v_ashrrev_i32_e32 v12, 31, v11
	v_lshlrev_b64 v[11:12], 2, v[11:12]
	v_add_co_u32_e32 v24, vcc, s8, v11
	v_addc_co_u32_e32 v25, vcc, v20, v12, vcc
	v_add_co_u32_e32 v26, vcc, s14, v11
	v_addc_co_u32_e32 v27, vcc, v21, v12, vcc
	;; [unrolled: 2-line block ×3, first 2 shown]
	global_load_dword v14, v[24:25], off offset:4
	global_load_dword v8, v[26:27], off
	global_load_dword v28, v[11:12], off glc
	s_waitcnt vmcnt(0)
	v_cmp_eq_u32_e32 vcc, 0, v28
	s_and_saveexec_b64 s[18:19], vcc
	s_cbranch_execz .LBB6_16
; %bb.14:                               ;   in Loop: Header=BB6_13 Depth=1
	s_mov_b64 s[26:27], 0
.LBB6_15:                               ;   Parent Loop BB6_13 Depth=1
                                        ; =>  This Inner Loop Header: Depth=2
	global_load_dword v24, v[11:12], off glc
	s_waitcnt vmcnt(0)
	v_cmp_ne_u32_e32 vcc, 0, v24
	s_or_b64 s[26:27], vcc, s[26:27]
	s_andn2_b64 exec, exec, s[26:27]
	s_cbranch_execnz .LBB6_15
.LBB6_16:                               ;   in Loop: Header=BB6_13 Depth=1
	s_or_b64 exec, exec, s[18:19]
	v_subrev_u32_e32 v24, s2, v14
	v_add_u32_e32 v11, -1, v24
	v_cmp_eq_u32_e32 vcc, -1, v8
	v_cndmask_b32_e32 v11, v8, v11, vcc
	v_ashrrev_i32_e32 v12, 31, v11
	v_lshlrev_b64 v[25:26], 2, v[11:12]
	v_mov_b32_e32 v8, s13
	v_add_co_u32_e32 v25, vcc, s12, v25
	v_addc_co_u32_e32 v26, vcc, v8, v26, vcc
	buffer_wbinvl1_vol
	global_load_dword v12, v[25:26], off
	s_mov_b64 s[26:27], -1
	s_waitcnt vmcnt(0)
	v_cmp_neq_f32_e32 vcc, 0, v12
	s_and_saveexec_b64 s[18:19], vcc
	s_xor_b64 s[18:19], exec, s[18:19]
	s_cbranch_execz .LBB6_12
; %bb.17:                               ;   in Loop: Header=BB6_13 Depth=1
	v_div_scale_f32 v8, s[26:27], v12, v12, v13
	v_div_scale_f32 v14, vcc, v13, v12, v13
	v_add_u32_e32 v7, 1, v7
	v_rcp_f32_e32 v25, v8
	v_fma_f32 v26, -v8, v25, 1.0
	v_fmac_f32_e32 v25, v26, v25
	v_mul_f32_e32 v26, v14, v25
	v_fma_f32 v27, -v8, v26, v14
	v_fmac_f32_e32 v26, v27, v25
	v_fma_f32 v8, -v8, v26, v14
	v_div_fmas_f32 v14, v8, v25, v26
	v_add_u32_e32 v8, v17, v11
	v_cmp_lt_i32_e32 vcc, v8, v24
	v_div_fixup_f32 v25, v14, v12, v13
	global_store_dword v[9:10], v25, off
	s_and_saveexec_b64 s[26:27], vcc
	s_cbranch_execz .LBB6_11
; %bb.18:                               ;   in Loop: Header=BB6_13 Depth=1
	s_mov_b64 s[28:29], 0
	v_mov_b32_e32 v10, v7
	s_branch .LBB6_20
.LBB6_19:                               ;   in Loop: Header=BB6_20 Depth=2
	s_or_b64 exec, exec, s[30:31]
	v_add_u32_e32 v8, 32, v8
	v_cmp_ge_i32_e32 vcc, v8, v24
	s_or_b64 s[28:29], vcc, s[28:29]
	s_andn2_b64 exec, exec, s[28:29]
	s_cbranch_execz .LBB6_11
.LBB6_20:                               ;   Parent Loop BB6_13 Depth=1
                                        ; =>  This Loop Header: Depth=2
                                        ;       Child Loop BB6_22 Depth 3
	v_add_u32_e32 v13, v10, v22
	v_ashrrev_i32_e32 v9, 31, v8
	v_lshlrev_b64 v[11:12], 2, v[8:9]
	v_ashrrev_i32_e32 v13, 1, v13
	v_ashrrev_i32_e32 v14, 31, v13
	v_mov_b32_e32 v9, s11
	v_add_co_u32_e32 v26, vcc, s10, v11
	v_lshlrev_b64 v[28:29], 2, v[13:14]
	v_addc_co_u32_e32 v27, vcc, v9, v12, vcc
	v_add_co_u32_e32 v28, vcc, s10, v28
	v_addc_co_u32_e32 v29, vcc, v9, v29, vcc
	global_load_dword v9, v[26:27], off
	global_load_dword v14, v[28:29], off
	v_cmp_lt_i32_e32 vcc, v10, v22
	s_and_saveexec_b64 s[30:31], vcc
	s_cbranch_execz .LBB6_24
; %bb.21:                               ;   in Loop: Header=BB6_20 Depth=2
	s_mov_b64 s[36:37], 0
	v_mov_b32_e32 v26, v22
.LBB6_22:                               ;   Parent Loop BB6_13 Depth=1
                                        ;     Parent Loop BB6_20 Depth=2
                                        ; =>    This Inner Loop Header: Depth=3
	v_add_u32_e32 v27, 1, v13
	s_waitcnt vmcnt(0)
	v_cmp_lt_i32_e32 vcc, v14, v9
	v_cndmask_b32_e32 v26, v13, v26, vcc
	v_cndmask_b32_e32 v10, v10, v27, vcc
	v_add_u32_e32 v13, v26, v10
	v_ashrrev_i32_e32 v13, 1, v13
	v_ashrrev_i32_e32 v14, 31, v13
	v_lshlrev_b64 v[27:28], 2, v[13:14]
	v_mov_b32_e32 v14, s11
	v_add_co_u32_e32 v27, vcc, s10, v27
	v_addc_co_u32_e32 v28, vcc, v14, v28, vcc
	global_load_dword v14, v[27:28], off
	v_cmp_ge_i32_e32 vcc, v10, v26
	s_or_b64 s[36:37], vcc, s[36:37]
	s_andn2_b64 exec, exec, s[36:37]
	s_cbranch_execnz .LBB6_22
; %bb.23:                               ;   in Loop: Header=BB6_20 Depth=2
	s_or_b64 exec, exec, s[36:37]
.LBB6_24:                               ;   in Loop: Header=BB6_20 Depth=2
	s_or_b64 exec, exec, s[30:31]
	s_waitcnt vmcnt(0)
	v_cmp_eq_u32_e32 vcc, v14, v9
	s_and_saveexec_b64 s[30:31], vcc
	s_cbranch_execz .LBB6_19
; %bb.25:                               ;   in Loop: Header=BB6_20 Depth=2
	v_mov_b32_e32 v9, s13
	v_add_co_u32_e32 v13, vcc, s12, v11
	v_ashrrev_i32_e32 v11, 31, v10
	v_addc_co_u32_e32 v14, vcc, v9, v12, vcc
	v_lshlrev_b64 v[11:12], 2, v[10:11]
	v_add_co_u32_e32 v11, vcc, s12, v11
	v_addc_co_u32_e32 v12, vcc, v9, v12, vcc
	global_load_dword v9, v[13:14], off
	global_load_dword v26, v[11:12], off
	s_waitcnt vmcnt(0)
	v_fma_f32 v9, -v25, v9, v26
	global_store_dword v[11:12], v9, off
	s_branch .LBB6_19
.LBB6_26:
	s_or_b64 exec, exec, s[0:1]
	v_cmp_lt_i32_e32 vcc, -1, v6
	s_and_saveexec_b64 s[6:7], vcc
	s_cbranch_execz .LBB6_42
; %bb.27:
	v_mov_b32_e32 v7, 0
	v_lshlrev_b64 v[6:7], 2, v[6:7]
	v_mov_b32_e32 v9, s13
	v_add_co_u32_e32 v8, vcc, s12, v6
	v_addc_co_u32_e32 v9, vcc, v9, v7, vcc
	global_load_dword v10, v[8:9], off
	v_cmp_eq_u32_e64 s[0:1], 0, v0
	s_mov_b64 s[8:9], -1
	s_waitcnt vmcnt(0)
	v_cmp_gt_f32_e32 vcc, 0, v10
	v_cndmask_b32_e64 v6, v10, -v10, vcc
	v_cvt_f64_f32_e32 v[6:7], v6
	s_andn2_b64 vcc, exec, s[34:35]
	s_cbranch_vccnz .LBB6_31
; %bb.28:
	v_cvt_f64_f32_e32 v[11:12], v15
	s_cmp_eq_u64 s[24:25], 8
	s_cselect_b64 vcc, -1, 0
	v_cndmask_b32_e32 v4, v12, v4, vcc
	v_cndmask_b32_e32 v3, v11, v3, vcc
	v_cmp_ge_f64_e32 vcc, v[3:4], v[6:7]
	s_and_b64 s[10:11], s[0:1], vcc
	s_and_saveexec_b64 s[8:9], s[10:11]
	s_cbranch_execz .LBB6_30
; %bb.29:
	global_store_dword v[8:9], v16, off
.LBB6_30:
	s_or_b64 exec, exec, s[8:9]
	s_mov_b64 s[8:9], 0
.LBB6_31:
	s_andn2_b64 vcc, exec, s[8:9]
	s_cbranch_vccnz .LBB6_42
; %bb.32:
	s_load_dwordx2 s[4:5], s[4:5], 0x48
	v_add_u32_e32 v3, s2, v5
	s_waitcnt lgkmcnt(0)
	v_cmp_ge_f64_e32 vcc, s[4:5], v[6:7]
	s_and_b64 s[4:5], s[0:1], vcc
	s_and_saveexec_b64 s[2:3], s[4:5]
	s_cbranch_execz .LBB6_37
; %bb.33:
	s_mov_b64 s[4:5], exec
	s_brev_b32 s8, -2
.LBB6_34:                               ; =>This Inner Loop Header: Depth=1
	s_ff1_i32_b64 s9, s[4:5]
	v_readlane_b32 s12, v3, s9
	s_lshl_b64 s[10:11], 1, s9
	s_min_i32 s8, s8, s12
	s_andn2_b64 s[4:5], s[4:5], s[10:11]
	s_cmp_lg_u64 s[4:5], 0
	s_cbranch_scc1 .LBB6_34
; %bb.35:
	v_mbcnt_lo_u32_b32 v4, exec_lo, 0
	v_mbcnt_hi_u32_b32 v4, exec_hi, v4
	v_cmp_eq_u32_e32 vcc, 0, v4
	s_and_saveexec_b64 s[4:5], vcc
	s_xor_b64 s[4:5], exec, s[4:5]
	s_cbranch_execz .LBB6_37
; %bb.36:
	v_mov_b32_e32 v4, 0
	v_mov_b32_e32 v5, s8
	global_atomic_smin v4, v5, s[22:23]
.LBB6_37:
	s_or_b64 exec, exec, s[2:3]
	v_cmp_eq_f32_e32 vcc, 0, v10
	s_and_b64 s[0:1], s[0:1], vcc
	s_and_b64 exec, exec, s[0:1]
	s_cbranch_execz .LBB6_42
; %bb.38:
	s_mov_b64 s[0:1], exec
	s_brev_b32 s2, -2
.LBB6_39:                               ; =>This Inner Loop Header: Depth=1
	s_ff1_i32_b64 s3, s[0:1]
	v_readlane_b32 s8, v3, s3
	s_lshl_b64 s[4:5], 1, s3
	s_min_i32 s2, s2, s8
	s_andn2_b64 s[0:1], s[0:1], s[4:5]
	s_cmp_lg_u64 s[0:1], 0
	s_cbranch_scc1 .LBB6_39
; %bb.40:
	v_mbcnt_lo_u32_b32 v3, exec_lo, 0
	v_mbcnt_hi_u32_b32 v3, exec_hi, v3
	v_cmp_eq_u32_e32 vcc, 0, v3
	s_and_saveexec_b64 s[0:1], vcc
	s_xor_b64 s[0:1], exec, s[0:1]
	s_cbranch_execz .LBB6_42
; %bb.41:
	v_mov_b32_e32 v3, 0
	v_mov_b32_e32 v4, s2
	global_atomic_smin v3, v4, s[20:21]
.LBB6_42:
	s_or_b64 exec, exec, s[6:7]
	v_cmp_eq_u32_e32 vcc, 0, v0
	s_waitcnt vmcnt(0)
	buffer_wbinvl1_vol
	s_and_b64 exec, exec, vcc
	s_cbranch_execz .LBB6_44
; %bb.43:
	v_mov_b32_e32 v3, s17
	v_add_co_u32_e32 v0, vcc, s16, v1
	v_addc_co_u32_e32 v1, vcc, v3, v2, vcc
	v_mov_b32_e32 v2, 1
	global_store_dword v[0:1], v2, off
.LBB6_44:
	s_endpgm
	.section	.rodata,"a",@progbits
	.p2align	6, 0x0
	.amdhsa_kernel _ZN9rocsparseL17csrilu0_binsearchILj256ELj32ELb0EfEEviPKiS2_PT2_S2_PiS2_S5_S5_d21rocsparse_index_base_imNS_24const_host_device_scalarIfEENS7_IdEENS7_IS3_EEb
		.amdhsa_group_segment_fixed_size 0
		.amdhsa_private_segment_fixed_size 0
		.amdhsa_kernarg_size 124
		.amdhsa_user_sgpr_count 6
		.amdhsa_user_sgpr_private_segment_buffer 1
		.amdhsa_user_sgpr_dispatch_ptr 0
		.amdhsa_user_sgpr_queue_ptr 0
		.amdhsa_user_sgpr_kernarg_segment_ptr 1
		.amdhsa_user_sgpr_dispatch_id 0
		.amdhsa_user_sgpr_flat_scratch_init 0
		.amdhsa_user_sgpr_private_segment_size 0
		.amdhsa_uses_dynamic_stack 0
		.amdhsa_system_sgpr_private_segment_wavefront_offset 0
		.amdhsa_system_sgpr_workgroup_id_x 1
		.amdhsa_system_sgpr_workgroup_id_y 0
		.amdhsa_system_sgpr_workgroup_id_z 0
		.amdhsa_system_sgpr_workgroup_info 0
		.amdhsa_system_vgpr_workitem_id 0
		.amdhsa_next_free_vgpr 30
		.amdhsa_next_free_sgpr 38
		.amdhsa_reserve_vcc 1
		.amdhsa_reserve_flat_scratch 0
		.amdhsa_float_round_mode_32 0
		.amdhsa_float_round_mode_16_64 0
		.amdhsa_float_denorm_mode_32 3
		.amdhsa_float_denorm_mode_16_64 3
		.amdhsa_dx10_clamp 1
		.amdhsa_ieee_mode 1
		.amdhsa_fp16_overflow 0
		.amdhsa_exception_fp_ieee_invalid_op 0
		.amdhsa_exception_fp_denorm_src 0
		.amdhsa_exception_fp_ieee_div_zero 0
		.amdhsa_exception_fp_ieee_overflow 0
		.amdhsa_exception_fp_ieee_underflow 0
		.amdhsa_exception_fp_ieee_inexact 0
		.amdhsa_exception_int_div_zero 0
	.end_amdhsa_kernel
	.section	.text._ZN9rocsparseL17csrilu0_binsearchILj256ELj32ELb0EfEEviPKiS2_PT2_S2_PiS2_S5_S5_d21rocsparse_index_base_imNS_24const_host_device_scalarIfEENS7_IdEENS7_IS3_EEb,"axG",@progbits,_ZN9rocsparseL17csrilu0_binsearchILj256ELj32ELb0EfEEviPKiS2_PT2_S2_PiS2_S5_S5_d21rocsparse_index_base_imNS_24const_host_device_scalarIfEENS7_IdEENS7_IS3_EEb,comdat
.Lfunc_end6:
	.size	_ZN9rocsparseL17csrilu0_binsearchILj256ELj32ELb0EfEEviPKiS2_PT2_S2_PiS2_S5_S5_d21rocsparse_index_base_imNS_24const_host_device_scalarIfEENS7_IdEENS7_IS3_EEb, .Lfunc_end6-_ZN9rocsparseL17csrilu0_binsearchILj256ELj32ELb0EfEEviPKiS2_PT2_S2_PiS2_S5_S5_d21rocsparse_index_base_imNS_24const_host_device_scalarIfEENS7_IdEENS7_IS3_EEb
                                        ; -- End function
	.set _ZN9rocsparseL17csrilu0_binsearchILj256ELj32ELb0EfEEviPKiS2_PT2_S2_PiS2_S5_S5_d21rocsparse_index_base_imNS_24const_host_device_scalarIfEENS7_IdEENS7_IS3_EEb.num_vgpr, 30
	.set _ZN9rocsparseL17csrilu0_binsearchILj256ELj32ELb0EfEEviPKiS2_PT2_S2_PiS2_S5_S5_d21rocsparse_index_base_imNS_24const_host_device_scalarIfEENS7_IdEENS7_IS3_EEb.num_agpr, 0
	.set _ZN9rocsparseL17csrilu0_binsearchILj256ELj32ELb0EfEEviPKiS2_PT2_S2_PiS2_S5_S5_d21rocsparse_index_base_imNS_24const_host_device_scalarIfEENS7_IdEENS7_IS3_EEb.numbered_sgpr, 38
	.set _ZN9rocsparseL17csrilu0_binsearchILj256ELj32ELb0EfEEviPKiS2_PT2_S2_PiS2_S5_S5_d21rocsparse_index_base_imNS_24const_host_device_scalarIfEENS7_IdEENS7_IS3_EEb.num_named_barrier, 0
	.set _ZN9rocsparseL17csrilu0_binsearchILj256ELj32ELb0EfEEviPKiS2_PT2_S2_PiS2_S5_S5_d21rocsparse_index_base_imNS_24const_host_device_scalarIfEENS7_IdEENS7_IS3_EEb.private_seg_size, 0
	.set _ZN9rocsparseL17csrilu0_binsearchILj256ELj32ELb0EfEEviPKiS2_PT2_S2_PiS2_S5_S5_d21rocsparse_index_base_imNS_24const_host_device_scalarIfEENS7_IdEENS7_IS3_EEb.uses_vcc, 1
	.set _ZN9rocsparseL17csrilu0_binsearchILj256ELj32ELb0EfEEviPKiS2_PT2_S2_PiS2_S5_S5_d21rocsparse_index_base_imNS_24const_host_device_scalarIfEENS7_IdEENS7_IS3_EEb.uses_flat_scratch, 0
	.set _ZN9rocsparseL17csrilu0_binsearchILj256ELj32ELb0EfEEviPKiS2_PT2_S2_PiS2_S5_S5_d21rocsparse_index_base_imNS_24const_host_device_scalarIfEENS7_IdEENS7_IS3_EEb.has_dyn_sized_stack, 0
	.set _ZN9rocsparseL17csrilu0_binsearchILj256ELj32ELb0EfEEviPKiS2_PT2_S2_PiS2_S5_S5_d21rocsparse_index_base_imNS_24const_host_device_scalarIfEENS7_IdEENS7_IS3_EEb.has_recursion, 0
	.set _ZN9rocsparseL17csrilu0_binsearchILj256ELj32ELb0EfEEviPKiS2_PT2_S2_PiS2_S5_S5_d21rocsparse_index_base_imNS_24const_host_device_scalarIfEENS7_IdEENS7_IS3_EEb.has_indirect_call, 0
	.section	.AMDGPU.csdata,"",@progbits
; Kernel info:
; codeLenInByte = 1512
; TotalNumSgprs: 42
; NumVgprs: 30
; ScratchSize: 0
; MemoryBound: 0
; FloatMode: 240
; IeeeMode: 1
; LDSByteSize: 0 bytes/workgroup (compile time only)
; SGPRBlocks: 5
; VGPRBlocks: 7
; NumSGPRsForWavesPerEU: 42
; NumVGPRsForWavesPerEU: 30
; Occupancy: 8
; WaveLimiterHint : 1
; COMPUTE_PGM_RSRC2:SCRATCH_EN: 0
; COMPUTE_PGM_RSRC2:USER_SGPR: 6
; COMPUTE_PGM_RSRC2:TRAP_HANDLER: 0
; COMPUTE_PGM_RSRC2:TGID_X_EN: 1
; COMPUTE_PGM_RSRC2:TGID_Y_EN: 0
; COMPUTE_PGM_RSRC2:TGID_Z_EN: 0
; COMPUTE_PGM_RSRC2:TIDIG_COMP_CNT: 0
	.section	.text._ZN9rocsparseL12csrilu0_hashILj256ELj64ELj1EfEEviPKiS2_PT2_S2_PiS2_S5_S5_d21rocsparse_index_base_imNS_24const_host_device_scalarIfEENS7_IdEENS7_IS3_EEb,"axG",@progbits,_ZN9rocsparseL12csrilu0_hashILj256ELj64ELj1EfEEviPKiS2_PT2_S2_PiS2_S5_S5_d21rocsparse_index_base_imNS_24const_host_device_scalarIfEENS7_IdEENS7_IS3_EEb,comdat
	.globl	_ZN9rocsparseL12csrilu0_hashILj256ELj64ELj1EfEEviPKiS2_PT2_S2_PiS2_S5_S5_d21rocsparse_index_base_imNS_24const_host_device_scalarIfEENS7_IdEENS7_IS3_EEb ; -- Begin function _ZN9rocsparseL12csrilu0_hashILj256ELj64ELj1EfEEviPKiS2_PT2_S2_PiS2_S5_S5_d21rocsparse_index_base_imNS_24const_host_device_scalarIfEENS7_IdEENS7_IS3_EEb
	.p2align	8
	.type	_ZN9rocsparseL12csrilu0_hashILj256ELj64ELj1EfEEviPKiS2_PT2_S2_PiS2_S5_S5_d21rocsparse_index_base_imNS_24const_host_device_scalarIfEENS7_IdEENS7_IS3_EEb,@function
_ZN9rocsparseL12csrilu0_hashILj256ELj64ELj1EfEEviPKiS2_PT2_S2_PiS2_S5_S5_d21rocsparse_index_base_imNS_24const_host_device_scalarIfEENS7_IdEENS7_IS3_EEb: ; @_ZN9rocsparseL12csrilu0_hashILj256ELj64ELj1EfEEviPKiS2_PT2_S2_PiS2_S5_S5_d21rocsparse_index_base_imNS_24const_host_device_scalarIfEENS7_IdEENS7_IS3_EEb
; %bb.0:
	s_load_dword s0, s[4:5], 0x78
	s_load_dwordx2 s[2:3], s[4:5], 0x50
	s_load_dwordx8 s[24:31], s[4:5], 0x58
	s_waitcnt lgkmcnt(0)
	s_bitcmp1_b32 s0, 0
	s_cselect_b64 s[0:1], -1, 0
	s_cmp_eq_u32 s3, 0
	s_cselect_b64 s[8:9], -1, 0
	s_cmp_lg_u32 s3, 0
	s_cselect_b64 s[34:35], -1, 0
	s_or_b64 s[0:1], s[8:9], s[0:1]
	s_xor_b64 s[10:11], s[0:1], -1
	s_and_b64 s[12:13], s[8:9], exec
	s_cselect_b32 s13, 0, s29
	s_cselect_b32 s12, 0, s28
	s_and_b64 vcc, exec, s[0:1]
	s_cbranch_vccnz .LBB7_2
; %bb.1:
	s_load_dword s0, s[26:27], 0x0
	s_mov_b64 s[12:13], s[28:29]
	s_waitcnt lgkmcnt(0)
	v_mov_b32_e32 v13, s0
	s_branch .LBB7_3
.LBB7_2:
	v_mov_b32_e32 v1, s26
	v_cndmask_b32_e64 v13, v1, 0, s[8:9]
.LBB7_3:
	v_cndmask_b32_e64 v1, 0, 1, s[10:11]
	v_mov_b32_e32 v2, s12
	v_cmp_ne_u32_e64 s[0:1], 1, v1
	s_andn2_b64 vcc, exec, s[10:11]
	v_mov_b32_e32 v3, s13
	s_cbranch_vccnz .LBB7_5
; %bb.4:
	v_mov_b32_e32 v1, s28
	v_mov_b32_e32 v2, s29
	flat_load_dwordx2 v[2:3], v[1:2]
.LBB7_5:
	s_and_b64 vcc, exec, s[0:1]
	s_cbranch_vccnz .LBB7_7
; %bb.6:
	s_load_dword s0, s[30:31], 0x0
	s_waitcnt lgkmcnt(0)
	v_mov_b32_e32 v14, s0
	s_branch .LBB7_8
.LBB7_7:
	v_mov_b32_e32 v1, s30
	v_cndmask_b32_e64 v14, v1, 0, s[8:9]
.LBB7_8:
	s_load_dword s0, s[4:5], 0x0
	s_lshl_b32 s1, s6, 2
	v_and_b32_e32 v12, 63, v0
	v_and_b32_e32 v6, 0xc0, v0
	v_mov_b32_e32 v1, 0x400
	v_lshrrev_b32_e32 v0, 6, v0
	s_and_b32 s1, s1, 0x3fffffc
	v_lshl_or_b32 v15, v6, 2, v1
	v_or_b32_e32 v0, s1, v0
	v_lshl_or_b32 v1, v12, 2, v15
	v_mov_b32_e32 v4, -1
	s_waitcnt lgkmcnt(0)
	v_cmp_gt_i32_e32 vcc, s0, v0
	ds_write_b32 v1, v4
	s_waitcnt lgkmcnt(0)
	s_and_saveexec_b64 s[0:1], vcc
	s_cbranch_execz .LBB7_80
; %bb.9:
	s_load_dwordx16 s[8:23], s[4:5], 0x8
	v_lshlrev_b32_e32 v0, 2, v0
	v_lshlrev_b32_e32 v16, 2, v6
	s_waitcnt lgkmcnt(0)
	global_load_dword v4, v0, s[18:19]
	v_mov_b32_e32 v8, s9
	v_mov_b32_e32 v10, s15
	s_waitcnt vmcnt(0)
	v_ashrrev_i32_e32 v5, 31, v4
	v_lshlrev_b64 v[0:1], 2, v[4:5]
	v_add_co_u32_e32 v7, vcc, s8, v0
	v_addc_co_u32_e32 v8, vcc, v8, v1, vcc
	global_load_dwordx2 v[7:8], v[7:8], off
	v_add_co_u32_e32 v9, vcc, s14, v0
	v_addc_co_u32_e32 v10, vcc, v10, v1, vcc
	global_load_dword v5, v[9:10], off
	s_waitcnt vmcnt(1)
	v_subrev_u32_e32 v6, s2, v7
	v_subrev_u32_e32 v9, s2, v8
	v_add_u32_e32 v7, v6, v12
	v_cmp_lt_i32_e32 vcc, v7, v9
	s_and_saveexec_b64 s[0:1], vcc
	s_cbranch_execz .LBB7_32
; %bb.10:
	s_mov_b64 s[6:7], 0
	v_mov_b32_e32 v10, s11
	v_mov_b32_e32 v11, -1
	s_branch .LBB7_12
.LBB7_11:                               ;   in Loop: Header=BB7_12 Depth=1
	s_or_b64 exec, exec, s[18:19]
	v_add_u32_e32 v7, 64, v7
	v_cmp_ge_i32_e32 vcc, v7, v9
	s_or_b64 s[6:7], vcc, s[6:7]
	s_andn2_b64 exec, exec, s[6:7]
	s_cbranch_execz .LBB7_32
.LBB7_12:                               ; =>This Loop Header: Depth=1
                                        ;     Child Loop BB7_21 Depth 2
	v_ashrrev_i32_e32 v8, 31, v7
	v_lshlrev_b64 v[17:18], 2, v[7:8]
	s_mov_b64 s[26:27], 0
	v_add_co_u32_e32 v17, vcc, s10, v17
	v_addc_co_u32_e32 v18, vcc, v10, v18, vcc
	global_load_dword v8, v[17:18], off
	v_mov_b32_e32 v17, 64
                                        ; implicit-def: $sgpr18_sgpr19
                                        ; implicit-def: $sgpr28_sgpr29
                                        ; implicit-def: $sgpr30_sgpr31
	s_waitcnt vmcnt(0)
	v_mul_lo_u32 v19, v8, 39
	s_branch .LBB7_21
.LBB7_13:                               ;   in Loop: Header=BB7_21 Depth=2
	s_or_b64 exec, exec, s[54:55]
	s_orn2_b64 s[50:51], s[50:51], exec
	s_orn2_b64 s[52:53], s[52:53], exec
.LBB7_14:                               ;   in Loop: Header=BB7_21 Depth=2
	s_or_b64 exec, exec, s[48:49]
	s_and_b64 s[50:51], s[50:51], exec
	s_orn2_b64 s[48:49], s[52:53], exec
.LBB7_15:                               ;   in Loop: Header=BB7_21 Depth=2
	s_or_b64 exec, exec, s[46:47]
	s_orn2_b64 s[50:51], s[50:51], exec
	s_orn2_b64 s[46:47], s[48:49], exec
.LBB7_16:                               ;   in Loop: Header=BB7_21 Depth=2
	s_or_b64 exec, exec, s[44:45]
	s_and_b64 s[48:49], s[50:51], exec
	s_orn2_b64 s[44:45], s[46:47], exec
.LBB7_17:                               ;   in Loop: Header=BB7_21 Depth=2
	s_or_b64 exec, exec, s[42:43]
	s_orn2_b64 s[42:43], s[48:49], exec
	s_orn2_b64 s[44:45], s[44:45], exec
.LBB7_18:                               ;   in Loop: Header=BB7_21 Depth=2
	s_or_b64 exec, exec, s[40:41]
	s_and_b64 s[42:43], s[42:43], exec
	s_orn2_b64 s[40:41], s[44:45], exec
.LBB7_19:                               ;   in Loop: Header=BB7_21 Depth=2
	s_or_b64 exec, exec, s[38:39]
	s_andn2_b64 s[30:31], s[30:31], exec
	s_and_b64 s[38:39], s[42:43], exec
	s_or_b64 s[30:31], s[30:31], s[38:39]
	s_andn2_b64 s[28:29], s[28:29], exec
	s_and_b64 s[38:39], s[40:41], exec
	s_or_b64 s[28:29], s[28:29], s[38:39]
.LBB7_20:                               ;   in Loop: Header=BB7_21 Depth=2
	s_or_b64 exec, exec, s[36:37]
	s_and_b64 s[36:37], exec, s[28:29]
	s_or_b64 s[26:27], s[36:37], s[26:27]
	s_andn2_b64 s[18:19], s[18:19], exec
	s_and_b64 s[36:37], s[30:31], exec
	s_or_b64 s[18:19], s[18:19], s[36:37]
	s_andn2_b64 exec, exec, s[26:27]
	s_cbranch_execz .LBB7_30
.LBB7_21:                               ;   Parent Loop BB7_12 Depth=1
                                        ; =>  This Inner Loop Header: Depth=2
	v_and_b32_e32 v18, 63, v19
	v_lshl_add_u32 v20, v18, 2, v15
	ds_read_b32 v21, v20
	s_or_b64 s[30:31], s[30:31], exec
	s_or_b64 s[28:29], s[28:29], exec
	s_waitcnt lgkmcnt(0)
	v_cmp_ne_u32_e32 vcc, v21, v8
	s_and_saveexec_b64 s[36:37], vcc
	s_cbranch_execz .LBB7_20
; %bb.22:                               ;   in Loop: Header=BB7_21 Depth=2
	ds_cmpst_rtn_b32 v20, v20, v11, v8
	s_mov_b64 s[40:41], -1
	s_mov_b64 s[42:43], 0
	s_waitcnt lgkmcnt(0)
	v_cmp_ne_u32_e32 vcc, -1, v20
	s_and_saveexec_b64 s[38:39], vcc
	s_cbranch_execz .LBB7_19
; %bb.23:                               ;   in Loop: Header=BB7_21 Depth=2
	v_add_u32_e32 v18, 1, v19
	v_and_b32_e32 v18, 63, v18
	v_lshl_add_u32 v20, v18, 2, v15
	ds_read_b32 v21, v20
	s_mov_b64 s[44:45], -1
	s_mov_b64 s[42:43], -1
	s_waitcnt lgkmcnt(0)
	v_cmp_ne_u32_e32 vcc, v21, v8
	s_and_saveexec_b64 s[40:41], vcc
	s_cbranch_execz .LBB7_18
; %bb.24:                               ;   in Loop: Header=BB7_21 Depth=2
	ds_cmpst_rtn_b32 v20, v20, v11, v8
	s_mov_b64 s[48:49], 0
	s_waitcnt lgkmcnt(0)
	v_cmp_ne_u32_e32 vcc, -1, v20
	s_and_saveexec_b64 s[42:43], vcc
	s_cbranch_execz .LBB7_17
; %bb.25:                               ;   in Loop: Header=BB7_21 Depth=2
	v_add_u32_e32 v18, 2, v19
	v_and_b32_e32 v18, 63, v18
	v_lshl_add_u32 v20, v18, 2, v15
	ds_read_b32 v21, v20
	s_mov_b64 s[46:47], -1
	s_mov_b64 s[50:51], -1
	s_waitcnt lgkmcnt(0)
	v_cmp_ne_u32_e32 vcc, v21, v8
	s_and_saveexec_b64 s[44:45], vcc
	s_cbranch_execz .LBB7_16
; %bb.26:                               ;   in Loop: Header=BB7_21 Depth=2
	ds_cmpst_rtn_b32 v20, v20, v11, v8
	s_mov_b64 s[48:49], -1
	s_mov_b64 s[50:51], 0
	s_waitcnt lgkmcnt(0)
	v_cmp_ne_u32_e32 vcc, -1, v20
	s_and_saveexec_b64 s[46:47], vcc
	s_cbranch_execz .LBB7_15
; %bb.27:                               ;   in Loop: Header=BB7_21 Depth=2
	v_add_u32_e32 v18, 3, v19
	v_and_b32_e32 v18, 63, v18
	v_lshl_add_u32 v20, v18, 2, v15
	ds_read_b32 v19, v20
	s_mov_b64 s[52:53], -1
	s_mov_b64 s[50:51], -1
	s_waitcnt lgkmcnt(0)
	v_cmp_ne_u32_e32 vcc, v19, v8
                                        ; implicit-def: $vgpr19
	s_and_saveexec_b64 s[48:49], vcc
	s_cbranch_execz .LBB7_14
; %bb.28:                               ;   in Loop: Header=BB7_21 Depth=2
	ds_cmpst_rtn_b32 v19, v20, v11, v8
	s_mov_b64 s[50:51], 0
	s_waitcnt lgkmcnt(0)
	v_cmp_ne_u32_e32 vcc, -1, v19
                                        ; implicit-def: $vgpr19
	s_and_saveexec_b64 s[54:55], vcc
	s_cbranch_execz .LBB7_13
; %bb.29:                               ;   in Loop: Header=BB7_21 Depth=2
	v_add_u32_e32 v17, -4, v17
	v_cmp_eq_u32_e32 vcc, 0, v17
	s_mov_b64 s[50:51], exec
	v_add_u32_e32 v19, 1, v18
	s_orn2_b64 s[52:53], vcc, exec
	s_branch .LBB7_13
.LBB7_30:                               ;   in Loop: Header=BB7_12 Depth=1
	s_or_b64 exec, exec, s[26:27]
	s_xor_b64 s[18:19], s[18:19], -1
	s_and_saveexec_b64 s[26:27], s[18:19]
	s_xor_b64 s[18:19], exec, s[26:27]
	s_cbranch_execz .LBB7_11
; %bb.31:                               ;   in Loop: Header=BB7_12 Depth=1
	v_lshl_add_u32 v8, v18, 2, v16
	ds_write_b32 v8, v7
	s_branch .LBB7_11
.LBB7_32:
	s_or_b64 exec, exec, s[0:1]
	s_waitcnt vmcnt(0)
	v_cmp_lt_i32_e32 vcc, v6, v5
	s_waitcnt lgkmcnt(0)
	s_and_saveexec_b64 s[0:1], vcc
	s_cbranch_execz .LBB7_62
; %bb.33:
	s_mov_b64 s[6:7], 0
	v_mov_b32_e32 v17, s11
	v_mov_b32_e32 v18, s13
	;; [unrolled: 1-line block ×5, first 2 shown]
	s_branch .LBB7_36
.LBB7_34:                               ;   in Loop: Header=BB7_36 Depth=1
	s_or_b64 exec, exec, s[26:27]
	v_add_u32_e32 v6, 1, v6
	v_cmp_ge_i32_e32 vcc, v6, v5
	s_orn2_b64 s[26:27], vcc, exec
.LBB7_35:                               ;   in Loop: Header=BB7_36 Depth=1
	s_or_b64 exec, exec, s[18:19]
	s_and_b64 s[18:19], exec, s[26:27]
	s_or_b64 s[6:7], s[18:19], s[6:7]
	s_andn2_b64 exec, exec, s[6:7]
	s_cbranch_execz .LBB7_62
.LBB7_36:                               ; =>This Loop Header: Depth=1
                                        ;     Child Loop BB7_37 Depth 2
                                        ;     Child Loop BB7_42 Depth 2
                                        ;       Child Loop BB7_51 Depth 3
	v_ashrrev_i32_e32 v7, 31, v6
	v_lshlrev_b64 v[8:9], 2, v[6:7]
	s_mov_b64 s[18:19], 0
	v_add_co_u32_e32 v10, vcc, s10, v8
	v_addc_co_u32_e32 v11, vcc, v17, v9, vcc
	global_load_dword v7, v[10:11], off
	v_add_co_u32_e32 v8, vcc, s12, v8
	v_addc_co_u32_e32 v9, vcc, v18, v9, vcc
	global_load_dword v23, v[8:9], off
	s_waitcnt vmcnt(1)
	v_subrev_u32_e32 v10, s2, v7
	v_ashrrev_i32_e32 v11, 31, v10
	v_lshlrev_b64 v[10:11], 2, v[10:11]
	v_add_co_u32_e32 v25, vcc, s8, v10
	v_addc_co_u32_e32 v26, vcc, v19, v11, vcc
	v_add_co_u32_e32 v27, vcc, s14, v10
	v_addc_co_u32_e32 v28, vcc, v20, v11, vcc
	global_load_dword v7, v[25:26], off offset:4
	global_load_dword v24, v[27:28], off
	v_add_co_u32_e32 v10, vcc, s16, v10
	v_addc_co_u32_e32 v11, vcc, v21, v11, vcc
.LBB7_37:                               ;   Parent Loop BB7_36 Depth=1
                                        ; =>  This Inner Loop Header: Depth=2
	global_load_dword v22, v[10:11], off glc
	s_waitcnt vmcnt(0)
	v_cmp_ne_u32_e32 vcc, 0, v22
	s_or_b64 s[18:19], vcc, s[18:19]
	s_andn2_b64 exec, exec, s[18:19]
	s_cbranch_execnz .LBB7_37
; %bb.38:                               ;   in Loop: Header=BB7_36 Depth=1
	s_or_b64 exec, exec, s[18:19]
	v_subrev_u32_e32 v22, s2, v7
	v_add_u32_e32 v7, -1, v22
	v_cmp_eq_u32_e32 vcc, -1, v24
	v_cndmask_b32_e32 v10, v24, v7, vcc
	v_ashrrev_i32_e32 v11, 31, v10
	v_lshlrev_b64 v[24:25], 2, v[10:11]
	buffer_wbinvl1_vol
	v_add_co_u32_e32 v24, vcc, s12, v24
	v_addc_co_u32_e32 v25, vcc, v18, v25, vcc
	global_load_dword v11, v[24:25], off
	s_mov_b64 s[26:27], -1
	s_waitcnt vmcnt(0)
	v_cmp_neq_f32_e32 vcc, 0, v11
	s_and_saveexec_b64 s[18:19], vcc
	s_cbranch_execz .LBB7_35
; %bb.39:                               ;   in Loop: Header=BB7_36 Depth=1
	v_div_scale_f32 v7, s[26:27], v11, v11, v23
	v_div_scale_f32 v24, vcc, v23, v11, v23
	v_rcp_f32_e32 v25, v7
	v_fma_f32 v26, -v7, v25, 1.0
	v_fmac_f32_e32 v25, v26, v25
	v_mul_f32_e32 v26, v24, v25
	v_fma_f32 v27, -v7, v26, v24
	v_fmac_f32_e32 v26, v27, v25
	v_fma_f32 v7, -v7, v26, v24
	v_div_fmas_f32 v24, v7, v25, v26
	v_add_u32_e32 v7, 1, v12
	v_add_u32_e32 v7, v7, v10
	v_cmp_lt_i32_e32 vcc, v7, v22
	v_div_fixup_f32 v10, v24, v11, v23
	global_store_dword v[8:9], v10, off
	s_and_saveexec_b64 s[26:27], vcc
	s_cbranch_execz .LBB7_34
; %bb.40:                               ;   in Loop: Header=BB7_36 Depth=1
	s_mov_b64 s[28:29], 0
	s_branch .LBB7_42
.LBB7_41:                               ;   in Loop: Header=BB7_42 Depth=2
	s_or_b64 exec, exec, s[30:31]
	v_add_u32_e32 v7, 64, v7
	v_cmp_ge_i32_e32 vcc, v7, v22
	s_or_b64 s[28:29], vcc, s[28:29]
	s_andn2_b64 exec, exec, s[28:29]
	s_cbranch_execz .LBB7_34
.LBB7_42:                               ;   Parent Loop BB7_36 Depth=1
                                        ; =>  This Loop Header: Depth=2
                                        ;       Child Loop BB7_51 Depth 3
	v_ashrrev_i32_e32 v8, 31, v7
	v_lshlrev_b64 v[8:9], 2, v[7:8]
	v_mov_b32_e32 v11, s11
	v_add_co_u32_e32 v23, vcc, s10, v8
	v_addc_co_u32_e32 v24, vcc, v11, v9, vcc
	global_load_dword v11, v[23:24], off
	v_mov_b32_e32 v23, 64
	s_mov_b64 s[36:37], 0
                                        ; implicit-def: $sgpr30_sgpr31
                                        ; implicit-def: $sgpr38_sgpr39
                                        ; implicit-def: $sgpr40_sgpr41
	s_waitcnt vmcnt(0)
	v_mul_lo_u32 v25, v11, 39
	s_branch .LBB7_51
.LBB7_43:                               ;   in Loop: Header=BB7_51 Depth=3
	s_or_b64 exec, exec, s[60:61]
	s_orn2_b64 s[56:57], s[56:57], exec
	s_orn2_b64 s[58:59], s[58:59], exec
.LBB7_44:                               ;   in Loop: Header=BB7_51 Depth=3
	s_or_b64 exec, exec, s[54:55]
	s_and_b64 s[56:57], s[56:57], exec
	s_orn2_b64 s[54:55], s[58:59], exec
.LBB7_45:                               ;   in Loop: Header=BB7_51 Depth=3
	s_or_b64 exec, exec, s[52:53]
	s_orn2_b64 s[56:57], s[56:57], exec
	s_orn2_b64 s[52:53], s[54:55], exec
.LBB7_46:                               ;   in Loop: Header=BB7_51 Depth=3
	s_or_b64 exec, exec, s[50:51]
	s_and_b64 s[54:55], s[56:57], exec
	s_orn2_b64 s[50:51], s[52:53], exec
.LBB7_47:                               ;   in Loop: Header=BB7_51 Depth=3
	s_or_b64 exec, exec, s[48:49]
	s_orn2_b64 s[48:49], s[54:55], exec
	s_orn2_b64 s[50:51], s[50:51], exec
.LBB7_48:                               ;   in Loop: Header=BB7_51 Depth=3
	s_or_b64 exec, exec, s[46:47]
	s_and_b64 s[48:49], s[48:49], exec
	s_orn2_b64 s[46:47], s[50:51], exec
.LBB7_49:                               ;   in Loop: Header=BB7_51 Depth=3
	s_or_b64 exec, exec, s[44:45]
	s_andn2_b64 s[40:41], s[40:41], exec
	s_and_b64 s[44:45], s[48:49], exec
	s_or_b64 s[40:41], s[40:41], s[44:45]
	s_andn2_b64 s[38:39], s[38:39], exec
	s_and_b64 s[44:45], s[46:47], exec
	s_or_b64 s[38:39], s[38:39], s[44:45]
.LBB7_50:                               ;   in Loop: Header=BB7_51 Depth=3
	s_or_b64 exec, exec, s[42:43]
	s_and_b64 s[42:43], exec, s[38:39]
	s_or_b64 s[36:37], s[42:43], s[36:37]
	s_andn2_b64 s[30:31], s[30:31], exec
	s_and_b64 s[42:43], s[40:41], exec
	s_or_b64 s[30:31], s[30:31], s[42:43]
	s_andn2_b64 exec, exec, s[36:37]
	s_cbranch_execz .LBB7_60
.LBB7_51:                               ;   Parent Loop BB7_36 Depth=1
                                        ;     Parent Loop BB7_42 Depth=2
                                        ; =>    This Inner Loop Header: Depth=3
	v_and_b32_e32 v24, 63, v25
	v_lshl_add_u32 v26, v24, 2, v15
	ds_read_b32 v26, v26
	s_or_b64 s[40:41], s[40:41], exec
	s_or_b64 s[38:39], s[38:39], exec
	s_waitcnt lgkmcnt(0)
	v_cmp_ne_u32_e32 vcc, -1, v26
	s_and_saveexec_b64 s[42:43], vcc
	s_cbranch_execz .LBB7_50
; %bb.52:                               ;   in Loop: Header=BB7_51 Depth=3
	v_cmp_ne_u32_e32 vcc, v26, v11
	s_mov_b64 s[46:47], -1
	s_mov_b64 s[48:49], 0
	s_and_saveexec_b64 s[44:45], vcc
	s_cbranch_execz .LBB7_49
; %bb.53:                               ;   in Loop: Header=BB7_51 Depth=3
	v_add_u32_e32 v24, 1, v25
	v_and_b32_e32 v24, 63, v24
	v_lshl_add_u32 v26, v24, 2, v15
	ds_read_b32 v26, v26
	s_mov_b64 s[50:51], -1
	s_mov_b64 s[48:49], -1
	s_waitcnt lgkmcnt(0)
	v_cmp_ne_u32_e32 vcc, -1, v26
	s_and_saveexec_b64 s[46:47], vcc
	s_cbranch_execz .LBB7_48
; %bb.54:                               ;   in Loop: Header=BB7_51 Depth=3
	v_cmp_ne_u32_e32 vcc, v26, v11
	s_mov_b64 s[54:55], 0
	s_and_saveexec_b64 s[48:49], vcc
	s_cbranch_execz .LBB7_47
; %bb.55:                               ;   in Loop: Header=BB7_51 Depth=3
	v_add_u32_e32 v24, 2, v25
	v_and_b32_e32 v24, 63, v24
	v_lshl_add_u32 v26, v24, 2, v15
	ds_read_b32 v26, v26
	s_mov_b64 s[52:53], -1
	s_mov_b64 s[56:57], -1
	s_waitcnt lgkmcnt(0)
	v_cmp_ne_u32_e32 vcc, -1, v26
	s_and_saveexec_b64 s[50:51], vcc
	s_cbranch_execz .LBB7_46
; %bb.56:                               ;   in Loop: Header=BB7_51 Depth=3
	v_cmp_ne_u32_e32 vcc, v26, v11
	s_mov_b64 s[54:55], -1
	s_mov_b64 s[56:57], 0
	s_and_saveexec_b64 s[52:53], vcc
	s_cbranch_execz .LBB7_45
; %bb.57:                               ;   in Loop: Header=BB7_51 Depth=3
	v_add_u32_e32 v24, 3, v25
	v_and_b32_e32 v24, 63, v24
	v_lshl_add_u32 v25, v24, 2, v15
	ds_read_b32 v26, v25
	s_mov_b64 s[58:59], -1
	s_mov_b64 s[56:57], -1
                                        ; implicit-def: $vgpr25
	s_waitcnt lgkmcnt(0)
	v_cmp_ne_u32_e32 vcc, -1, v26
	s_and_saveexec_b64 s[54:55], vcc
	s_cbranch_execz .LBB7_44
; %bb.58:                               ;   in Loop: Header=BB7_51 Depth=3
	v_cmp_ne_u32_e32 vcc, v26, v11
	s_mov_b64 s[56:57], 0
                                        ; implicit-def: $vgpr25
	s_and_saveexec_b64 s[60:61], vcc
	s_cbranch_execz .LBB7_43
; %bb.59:                               ;   in Loop: Header=BB7_51 Depth=3
	v_add_u32_e32 v23, -4, v23
	v_cmp_eq_u32_e32 vcc, 0, v23
	s_mov_b64 s[56:57], exec
	v_add_u32_e32 v25, 1, v24
	s_orn2_b64 s[58:59], vcc, exec
	s_branch .LBB7_43
.LBB7_60:                               ;   in Loop: Header=BB7_42 Depth=2
	s_or_b64 exec, exec, s[36:37]
	s_xor_b64 s[30:31], s[30:31], -1
	s_and_saveexec_b64 s[36:37], s[30:31]
	s_xor_b64 s[30:31], exec, s[36:37]
	s_cbranch_execz .LBB7_41
; %bb.61:                               ;   in Loop: Header=BB7_42 Depth=2
	v_lshl_add_u32 v11, v24, 2, v16
	ds_read_b32 v23, v11
	v_mov_b32_e32 v11, s13
	v_add_co_u32_e32 v8, vcc, s12, v8
	v_addc_co_u32_e32 v9, vcc, v11, v9, vcc
	s_waitcnt lgkmcnt(0)
	v_ashrrev_i32_e32 v24, 31, v23
	v_lshlrev_b64 v[23:24], 2, v[23:24]
	v_add_co_u32_e32 v23, vcc, s12, v23
	v_addc_co_u32_e32 v24, vcc, v11, v24, vcc
	global_load_dword v11, v[8:9], off
	global_load_dword v25, v[23:24], off
	s_waitcnt vmcnt(0)
	v_fma_f32 v8, -v10, v11, v25
	global_store_dword v[23:24], v8, off
	s_branch .LBB7_41
.LBB7_62:
	s_or_b64 exec, exec, s[0:1]
	v_cmp_lt_i32_e32 vcc, -1, v5
	s_and_saveexec_b64 s[6:7], vcc
	s_cbranch_execz .LBB7_78
; %bb.63:
	v_mov_b32_e32 v6, 0
	v_lshlrev_b64 v[5:6], 2, v[5:6]
	v_mov_b32_e32 v8, s13
	v_add_co_u32_e32 v7, vcc, s12, v5
	v_addc_co_u32_e32 v8, vcc, v8, v6, vcc
	global_load_dword v9, v[7:8], off
	v_cmp_eq_u32_e64 s[0:1], 0, v12
	s_mov_b64 s[8:9], -1
	s_waitcnt vmcnt(0)
	v_cmp_gt_f32_e32 vcc, 0, v9
	v_cndmask_b32_e64 v5, v9, -v9, vcc
	v_cvt_f64_f32_e32 v[5:6], v5
	s_andn2_b64 vcc, exec, s[34:35]
	s_cbranch_vccnz .LBB7_67
; %bb.64:
	v_cvt_f64_f32_e32 v[10:11], v13
	s_cmp_eq_u64 s[24:25], 8
	s_cselect_b64 vcc, -1, 0
	v_cndmask_b32_e32 v3, v11, v3, vcc
	v_cndmask_b32_e32 v2, v10, v2, vcc
	v_cmp_ge_f64_e32 vcc, v[2:3], v[5:6]
	s_and_b64 s[10:11], s[0:1], vcc
	s_and_saveexec_b64 s[8:9], s[10:11]
	s_cbranch_execz .LBB7_66
; %bb.65:
	global_store_dword v[7:8], v14, off
	s_waitcnt vmcnt(0)
	buffer_wbinvl1_vol
.LBB7_66:
	s_or_b64 exec, exec, s[8:9]
	s_mov_b64 s[8:9], 0
.LBB7_67:
	s_andn2_b64 vcc, exec, s[8:9]
	s_cbranch_vccnz .LBB7_78
; %bb.68:
	s_load_dwordx2 s[4:5], s[4:5], 0x48
	v_add_u32_e32 v2, s2, v4
	s_waitcnt lgkmcnt(0)
	v_cmp_ge_f64_e32 vcc, s[4:5], v[5:6]
	s_and_b64 s[4:5], s[0:1], vcc
	s_and_saveexec_b64 s[2:3], s[4:5]
	s_cbranch_execz .LBB7_73
; %bb.69:
	s_mov_b64 s[4:5], exec
	s_brev_b32 s8, -2
.LBB7_70:                               ; =>This Inner Loop Header: Depth=1
	s_ff1_i32_b64 s9, s[4:5]
	v_readlane_b32 s12, v2, s9
	s_lshl_b64 s[10:11], 1, s9
	s_min_i32 s8, s8, s12
	s_andn2_b64 s[4:5], s[4:5], s[10:11]
	s_cmp_lg_u64 s[4:5], 0
	s_cbranch_scc1 .LBB7_70
; %bb.71:
	v_mbcnt_lo_u32_b32 v3, exec_lo, 0
	v_mbcnt_hi_u32_b32 v3, exec_hi, v3
	v_cmp_eq_u32_e32 vcc, 0, v3
	s_and_saveexec_b64 s[4:5], vcc
	s_xor_b64 s[4:5], exec, s[4:5]
	s_cbranch_execz .LBB7_73
; %bb.72:
	v_mov_b32_e32 v3, 0
	v_mov_b32_e32 v4, s8
	global_atomic_smin v3, v4, s[22:23]
.LBB7_73:
	s_or_b64 exec, exec, s[2:3]
	v_cmp_eq_f32_e32 vcc, 0, v9
	s_and_b64 s[0:1], s[0:1], vcc
	s_and_b64 exec, exec, s[0:1]
	s_cbranch_execz .LBB7_78
; %bb.74:
	s_mov_b64 s[0:1], exec
	s_brev_b32 s2, -2
.LBB7_75:                               ; =>This Inner Loop Header: Depth=1
	s_ff1_i32_b64 s3, s[0:1]
	v_readlane_b32 s8, v2, s3
	s_lshl_b64 s[4:5], 1, s3
	s_min_i32 s2, s2, s8
	s_andn2_b64 s[0:1], s[0:1], s[4:5]
	s_cmp_lg_u64 s[0:1], 0
	s_cbranch_scc1 .LBB7_75
; %bb.76:
	v_mbcnt_lo_u32_b32 v2, exec_lo, 0
	v_mbcnt_hi_u32_b32 v2, exec_hi, v2
	v_cmp_eq_u32_e32 vcc, 0, v2
	s_and_saveexec_b64 s[0:1], vcc
	s_xor_b64 s[0:1], exec, s[0:1]
	s_cbranch_execz .LBB7_78
; %bb.77:
	v_mov_b32_e32 v2, 0
	v_mov_b32_e32 v3, s2
	global_atomic_smin v2, v3, s[20:21]
.LBB7_78:
	s_or_b64 exec, exec, s[6:7]
	v_cmp_eq_u32_e32 vcc, 0, v12
	s_waitcnt vmcnt(0)
	buffer_wbinvl1_vol
	s_and_b64 exec, exec, vcc
	s_cbranch_execz .LBB7_80
; %bb.79:
	v_mov_b32_e32 v2, s17
	v_add_co_u32_e32 v0, vcc, s16, v0
	v_addc_co_u32_e32 v1, vcc, v2, v1, vcc
	v_mov_b32_e32 v2, 1
	global_store_dword v[0:1], v2, off
.LBB7_80:
	s_endpgm
	.section	.rodata,"a",@progbits
	.p2align	6, 0x0
	.amdhsa_kernel _ZN9rocsparseL12csrilu0_hashILj256ELj64ELj1EfEEviPKiS2_PT2_S2_PiS2_S5_S5_d21rocsparse_index_base_imNS_24const_host_device_scalarIfEENS7_IdEENS7_IS3_EEb
		.amdhsa_group_segment_fixed_size 2048
		.amdhsa_private_segment_fixed_size 0
		.amdhsa_kernarg_size 124
		.amdhsa_user_sgpr_count 6
		.amdhsa_user_sgpr_private_segment_buffer 1
		.amdhsa_user_sgpr_dispatch_ptr 0
		.amdhsa_user_sgpr_queue_ptr 0
		.amdhsa_user_sgpr_kernarg_segment_ptr 1
		.amdhsa_user_sgpr_dispatch_id 0
		.amdhsa_user_sgpr_flat_scratch_init 0
		.amdhsa_user_sgpr_private_segment_size 0
		.amdhsa_uses_dynamic_stack 0
		.amdhsa_system_sgpr_private_segment_wavefront_offset 0
		.amdhsa_system_sgpr_workgroup_id_x 1
		.amdhsa_system_sgpr_workgroup_id_y 0
		.amdhsa_system_sgpr_workgroup_id_z 0
		.amdhsa_system_sgpr_workgroup_info 0
		.amdhsa_system_vgpr_workitem_id 0
		.amdhsa_next_free_vgpr 29
		.amdhsa_next_free_sgpr 62
		.amdhsa_reserve_vcc 1
		.amdhsa_reserve_flat_scratch 0
		.amdhsa_float_round_mode_32 0
		.amdhsa_float_round_mode_16_64 0
		.amdhsa_float_denorm_mode_32 3
		.amdhsa_float_denorm_mode_16_64 3
		.amdhsa_dx10_clamp 1
		.amdhsa_ieee_mode 1
		.amdhsa_fp16_overflow 0
		.amdhsa_exception_fp_ieee_invalid_op 0
		.amdhsa_exception_fp_denorm_src 0
		.amdhsa_exception_fp_ieee_div_zero 0
		.amdhsa_exception_fp_ieee_overflow 0
		.amdhsa_exception_fp_ieee_underflow 0
		.amdhsa_exception_fp_ieee_inexact 0
		.amdhsa_exception_int_div_zero 0
	.end_amdhsa_kernel
	.section	.text._ZN9rocsparseL12csrilu0_hashILj256ELj64ELj1EfEEviPKiS2_PT2_S2_PiS2_S5_S5_d21rocsparse_index_base_imNS_24const_host_device_scalarIfEENS7_IdEENS7_IS3_EEb,"axG",@progbits,_ZN9rocsparseL12csrilu0_hashILj256ELj64ELj1EfEEviPKiS2_PT2_S2_PiS2_S5_S5_d21rocsparse_index_base_imNS_24const_host_device_scalarIfEENS7_IdEENS7_IS3_EEb,comdat
.Lfunc_end7:
	.size	_ZN9rocsparseL12csrilu0_hashILj256ELj64ELj1EfEEviPKiS2_PT2_S2_PiS2_S5_S5_d21rocsparse_index_base_imNS_24const_host_device_scalarIfEENS7_IdEENS7_IS3_EEb, .Lfunc_end7-_ZN9rocsparseL12csrilu0_hashILj256ELj64ELj1EfEEviPKiS2_PT2_S2_PiS2_S5_S5_d21rocsparse_index_base_imNS_24const_host_device_scalarIfEENS7_IdEENS7_IS3_EEb
                                        ; -- End function
	.set _ZN9rocsparseL12csrilu0_hashILj256ELj64ELj1EfEEviPKiS2_PT2_S2_PiS2_S5_S5_d21rocsparse_index_base_imNS_24const_host_device_scalarIfEENS7_IdEENS7_IS3_EEb.num_vgpr, 29
	.set _ZN9rocsparseL12csrilu0_hashILj256ELj64ELj1EfEEviPKiS2_PT2_S2_PiS2_S5_S5_d21rocsparse_index_base_imNS_24const_host_device_scalarIfEENS7_IdEENS7_IS3_EEb.num_agpr, 0
	.set _ZN9rocsparseL12csrilu0_hashILj256ELj64ELj1EfEEviPKiS2_PT2_S2_PiS2_S5_S5_d21rocsparse_index_base_imNS_24const_host_device_scalarIfEENS7_IdEENS7_IS3_EEb.numbered_sgpr, 62
	.set _ZN9rocsparseL12csrilu0_hashILj256ELj64ELj1EfEEviPKiS2_PT2_S2_PiS2_S5_S5_d21rocsparse_index_base_imNS_24const_host_device_scalarIfEENS7_IdEENS7_IS3_EEb.num_named_barrier, 0
	.set _ZN9rocsparseL12csrilu0_hashILj256ELj64ELj1EfEEviPKiS2_PT2_S2_PiS2_S5_S5_d21rocsparse_index_base_imNS_24const_host_device_scalarIfEENS7_IdEENS7_IS3_EEb.private_seg_size, 0
	.set _ZN9rocsparseL12csrilu0_hashILj256ELj64ELj1EfEEviPKiS2_PT2_S2_PiS2_S5_S5_d21rocsparse_index_base_imNS_24const_host_device_scalarIfEENS7_IdEENS7_IS3_EEb.uses_vcc, 1
	.set _ZN9rocsparseL12csrilu0_hashILj256ELj64ELj1EfEEviPKiS2_PT2_S2_PiS2_S5_S5_d21rocsparse_index_base_imNS_24const_host_device_scalarIfEENS7_IdEENS7_IS3_EEb.uses_flat_scratch, 0
	.set _ZN9rocsparseL12csrilu0_hashILj256ELj64ELj1EfEEviPKiS2_PT2_S2_PiS2_S5_S5_d21rocsparse_index_base_imNS_24const_host_device_scalarIfEENS7_IdEENS7_IS3_EEb.has_dyn_sized_stack, 0
	.set _ZN9rocsparseL12csrilu0_hashILj256ELj64ELj1EfEEviPKiS2_PT2_S2_PiS2_S5_S5_d21rocsparse_index_base_imNS_24const_host_device_scalarIfEENS7_IdEENS7_IS3_EEb.has_recursion, 0
	.set _ZN9rocsparseL12csrilu0_hashILj256ELj64ELj1EfEEviPKiS2_PT2_S2_PiS2_S5_S5_d21rocsparse_index_base_imNS_24const_host_device_scalarIfEENS7_IdEENS7_IS3_EEb.has_indirect_call, 0
	.section	.AMDGPU.csdata,"",@progbits
; Kernel info:
; codeLenInByte = 2468
; TotalNumSgprs: 66
; NumVgprs: 29
; ScratchSize: 0
; MemoryBound: 0
; FloatMode: 240
; IeeeMode: 1
; LDSByteSize: 2048 bytes/workgroup (compile time only)
; SGPRBlocks: 8
; VGPRBlocks: 7
; NumSGPRsForWavesPerEU: 66
; NumVGPRsForWavesPerEU: 29
; Occupancy: 8
; WaveLimiterHint : 1
; COMPUTE_PGM_RSRC2:SCRATCH_EN: 0
; COMPUTE_PGM_RSRC2:USER_SGPR: 6
; COMPUTE_PGM_RSRC2:TRAP_HANDLER: 0
; COMPUTE_PGM_RSRC2:TGID_X_EN: 1
; COMPUTE_PGM_RSRC2:TGID_Y_EN: 0
; COMPUTE_PGM_RSRC2:TGID_Z_EN: 0
; COMPUTE_PGM_RSRC2:TIDIG_COMP_CNT: 0
	.section	.text._ZN9rocsparseL12csrilu0_hashILj256ELj64ELj2EfEEviPKiS2_PT2_S2_PiS2_S5_S5_d21rocsparse_index_base_imNS_24const_host_device_scalarIfEENS7_IdEENS7_IS3_EEb,"axG",@progbits,_ZN9rocsparseL12csrilu0_hashILj256ELj64ELj2EfEEviPKiS2_PT2_S2_PiS2_S5_S5_d21rocsparse_index_base_imNS_24const_host_device_scalarIfEENS7_IdEENS7_IS3_EEb,comdat
	.globl	_ZN9rocsparseL12csrilu0_hashILj256ELj64ELj2EfEEviPKiS2_PT2_S2_PiS2_S5_S5_d21rocsparse_index_base_imNS_24const_host_device_scalarIfEENS7_IdEENS7_IS3_EEb ; -- Begin function _ZN9rocsparseL12csrilu0_hashILj256ELj64ELj2EfEEviPKiS2_PT2_S2_PiS2_S5_S5_d21rocsparse_index_base_imNS_24const_host_device_scalarIfEENS7_IdEENS7_IS3_EEb
	.p2align	8
	.type	_ZN9rocsparseL12csrilu0_hashILj256ELj64ELj2EfEEviPKiS2_PT2_S2_PiS2_S5_S5_d21rocsparse_index_base_imNS_24const_host_device_scalarIfEENS7_IdEENS7_IS3_EEb,@function
_ZN9rocsparseL12csrilu0_hashILj256ELj64ELj2EfEEviPKiS2_PT2_S2_PiS2_S5_S5_d21rocsparse_index_base_imNS_24const_host_device_scalarIfEENS7_IdEENS7_IS3_EEb: ; @_ZN9rocsparseL12csrilu0_hashILj256ELj64ELj2EfEEviPKiS2_PT2_S2_PiS2_S5_S5_d21rocsparse_index_base_imNS_24const_host_device_scalarIfEENS7_IdEENS7_IS3_EEb
; %bb.0:
	s_load_dword s0, s[4:5], 0x78
	s_load_dwordx2 s[2:3], s[4:5], 0x50
	s_load_dwordx8 s[24:31], s[4:5], 0x58
	s_waitcnt lgkmcnt(0)
	s_bitcmp1_b32 s0, 0
	s_cselect_b64 s[0:1], -1, 0
	s_cmp_eq_u32 s3, 0
	s_cselect_b64 s[8:9], -1, 0
	s_cmp_lg_u32 s3, 0
	s_cselect_b64 s[34:35], -1, 0
	s_or_b64 s[0:1], s[8:9], s[0:1]
	s_xor_b64 s[10:11], s[0:1], -1
	s_and_b64 s[12:13], s[8:9], exec
	s_cselect_b32 s13, 0, s29
	s_cselect_b32 s12, 0, s28
	s_and_b64 vcc, exec, s[0:1]
	s_cbranch_vccnz .LBB8_2
; %bb.1:
	s_load_dword s0, s[26:27], 0x0
	s_mov_b64 s[12:13], s[28:29]
	s_waitcnt lgkmcnt(0)
	v_mov_b32_e32 v14, s0
	s_branch .LBB8_3
.LBB8_2:
	v_mov_b32_e32 v1, s26
	v_cndmask_b32_e64 v14, v1, 0, s[8:9]
.LBB8_3:
	v_cndmask_b32_e64 v1, 0, 1, s[10:11]
	v_mov_b32_e32 v3, s12
	v_cmp_ne_u32_e64 s[0:1], 1, v1
	s_andn2_b64 vcc, exec, s[10:11]
	v_mov_b32_e32 v4, s13
	s_cbranch_vccnz .LBB8_5
; %bb.4:
	v_mov_b32_e32 v1, s28
	v_mov_b32_e32 v2, s29
	flat_load_dwordx2 v[3:4], v[1:2]
.LBB8_5:
	s_and_b64 vcc, exec, s[0:1]
	s_cbranch_vccnz .LBB8_7
; %bb.6:
	s_load_dword s0, s[30:31], 0x0
	s_waitcnt lgkmcnt(0)
	v_mov_b32_e32 v15, s0
	s_branch .LBB8_8
.LBB8_7:
	v_mov_b32_e32 v1, s30
	v_cndmask_b32_e64 v15, v1, 0, s[8:9]
.LBB8_8:
	v_and_b32_e32 v13, 63, v0
	v_lshrrev_b32_e32 v1, 6, v0
	v_lshlrev_b32_e32 v5, 9, v1
	v_lshlrev_b32_e32 v6, 2, v13
	s_movk_i32 s0, 0x800
	v_or_b32_e32 v2, 0xffffffc0, v13
	v_or3_b32 v5, v5, v6, s0
	s_mov_b64 s[0:1], 0
	v_mov_b32_e32 v6, -1
.LBB8_9:                                ; =>This Inner Loop Header: Depth=1
	v_add_co_u32_e32 v2, vcc, 64, v2
	s_xor_b64 s[8:9], vcc, -1
	s_and_b64 s[8:9], exec, s[8:9]
	ds_write_b32 v5, v6
	s_or_b64 s[0:1], s[8:9], s[0:1]
	v_add_u32_e32 v5, 0x100, v5
	s_andn2_b64 exec, exec, s[0:1]
	s_cbranch_execnz .LBB8_9
; %bb.10:
	s_or_b64 exec, exec, s[0:1]
	s_load_dword s0, s[4:5], 0x0
	s_lshl_b32 s1, s6, 2
	s_and_b32 s1, s1, 0x3fffffc
	v_or_b32_e32 v1, s1, v1
	s_waitcnt lgkmcnt(0)
	v_cmp_gt_i32_e32 vcc, s0, v1
	s_and_saveexec_b64 s[0:1], vcc
	s_cbranch_execz .LBB8_82
; %bb.11:
	s_load_dwordx16 s[8:23], s[4:5], 0x8
	v_lshlrev_b32_e32 v1, 2, v1
	v_lshlrev_b32_e32 v0, 3, v0
	v_and_b32_e32 v0, 0x600, v0
	v_or_b32_e32 v16, 0x800, v0
	s_waitcnt lgkmcnt(0)
	global_load_dword v5, v1, s[18:19]
	v_mov_b32_e32 v7, s9
	v_mov_b32_e32 v10, s15
	s_waitcnt vmcnt(0)
	v_ashrrev_i32_e32 v6, 31, v5
	v_lshlrev_b64 v[1:2], 2, v[5:6]
	v_add_co_u32_e32 v6, vcc, s8, v1
	v_addc_co_u32_e32 v7, vcc, v7, v2, vcc
	global_load_dwordx2 v[7:8], v[6:7], off
	v_add_co_u32_e32 v9, vcc, s14, v1
	v_addc_co_u32_e32 v10, vcc, v10, v2, vcc
	global_load_dword v6, v[9:10], off
	s_waitcnt vmcnt(1)
	v_subrev_u32_e32 v7, s2, v7
	v_subrev_u32_e32 v10, s2, v8
	v_add_u32_e32 v8, v7, v13
	v_cmp_lt_i32_e32 vcc, v8, v10
	s_and_saveexec_b64 s[0:1], vcc
	s_cbranch_execz .LBB8_34
; %bb.12:
	s_mov_b64 s[6:7], 0
	v_mov_b32_e32 v11, s11
	s_movk_i32 s3, 0x67
	v_mov_b32_e32 v12, -1
	s_branch .LBB8_14
.LBB8_13:                               ;   in Loop: Header=BB8_14 Depth=1
	s_or_b64 exec, exec, s[18:19]
	v_add_u32_e32 v8, 64, v8
	v_cmp_ge_i32_e32 vcc, v8, v10
	s_or_b64 s[6:7], vcc, s[6:7]
	s_andn2_b64 exec, exec, s[6:7]
	s_cbranch_execz .LBB8_34
.LBB8_14:                               ; =>This Loop Header: Depth=1
                                        ;     Child Loop BB8_23 Depth 2
	v_ashrrev_i32_e32 v9, 31, v8
	v_lshlrev_b64 v[17:18], 2, v[8:9]
	s_mov_b64 s[26:27], 0
	v_add_co_u32_e32 v17, vcc, s10, v17
	v_addc_co_u32_e32 v18, vcc, v11, v18, vcc
	global_load_dword v9, v[17:18], off
	v_mov_b32_e32 v17, 0x80
                                        ; implicit-def: $sgpr18_sgpr19
                                        ; implicit-def: $sgpr28_sgpr29
                                        ; implicit-def: $sgpr30_sgpr31
	s_waitcnt vmcnt(0)
	v_mul_lo_u32 v19, v9, s3
	s_branch .LBB8_23
.LBB8_15:                               ;   in Loop: Header=BB8_23 Depth=2
	s_or_b64 exec, exec, s[54:55]
	s_orn2_b64 s[50:51], s[50:51], exec
	s_orn2_b64 s[52:53], s[52:53], exec
.LBB8_16:                               ;   in Loop: Header=BB8_23 Depth=2
	s_or_b64 exec, exec, s[48:49]
	s_and_b64 s[50:51], s[50:51], exec
	s_orn2_b64 s[48:49], s[52:53], exec
.LBB8_17:                               ;   in Loop: Header=BB8_23 Depth=2
	s_or_b64 exec, exec, s[46:47]
	s_orn2_b64 s[50:51], s[50:51], exec
	s_orn2_b64 s[46:47], s[48:49], exec
.LBB8_18:                               ;   in Loop: Header=BB8_23 Depth=2
	s_or_b64 exec, exec, s[44:45]
	s_and_b64 s[48:49], s[50:51], exec
	s_orn2_b64 s[44:45], s[46:47], exec
.LBB8_19:                               ;   in Loop: Header=BB8_23 Depth=2
	s_or_b64 exec, exec, s[42:43]
	s_orn2_b64 s[42:43], s[48:49], exec
	s_orn2_b64 s[44:45], s[44:45], exec
.LBB8_20:                               ;   in Loop: Header=BB8_23 Depth=2
	s_or_b64 exec, exec, s[40:41]
	s_and_b64 s[42:43], s[42:43], exec
	s_orn2_b64 s[40:41], s[44:45], exec
.LBB8_21:                               ;   in Loop: Header=BB8_23 Depth=2
	s_or_b64 exec, exec, s[38:39]
	s_andn2_b64 s[30:31], s[30:31], exec
	s_and_b64 s[38:39], s[42:43], exec
	s_or_b64 s[30:31], s[30:31], s[38:39]
	s_andn2_b64 s[28:29], s[28:29], exec
	s_and_b64 s[38:39], s[40:41], exec
	s_or_b64 s[28:29], s[28:29], s[38:39]
.LBB8_22:                               ;   in Loop: Header=BB8_23 Depth=2
	s_or_b64 exec, exec, s[36:37]
	s_and_b64 s[36:37], exec, s[28:29]
	s_or_b64 s[26:27], s[36:37], s[26:27]
	s_andn2_b64 s[18:19], s[18:19], exec
	s_and_b64 s[36:37], s[30:31], exec
	s_or_b64 s[18:19], s[18:19], s[36:37]
	s_andn2_b64 exec, exec, s[26:27]
	s_cbranch_execz .LBB8_32
.LBB8_23:                               ;   Parent Loop BB8_14 Depth=1
                                        ; =>  This Inner Loop Header: Depth=2
	v_and_b32_e32 v18, 0x7f, v19
	v_lshl_add_u32 v20, v18, 2, v16
	ds_read_b32 v21, v20
	s_or_b64 s[30:31], s[30:31], exec
	s_or_b64 s[28:29], s[28:29], exec
	s_waitcnt lgkmcnt(0)
	v_cmp_ne_u32_e32 vcc, v21, v9
	s_and_saveexec_b64 s[36:37], vcc
	s_cbranch_execz .LBB8_22
; %bb.24:                               ;   in Loop: Header=BB8_23 Depth=2
	ds_cmpst_rtn_b32 v20, v20, v12, v9
	s_mov_b64 s[40:41], -1
	s_mov_b64 s[42:43], 0
	s_waitcnt lgkmcnt(0)
	v_cmp_ne_u32_e32 vcc, -1, v20
	s_and_saveexec_b64 s[38:39], vcc
	s_cbranch_execz .LBB8_21
; %bb.25:                               ;   in Loop: Header=BB8_23 Depth=2
	v_add_u32_e32 v18, 1, v19
	v_and_b32_e32 v18, 0x7f, v18
	v_lshl_add_u32 v20, v18, 2, v16
	ds_read_b32 v21, v20
	s_mov_b64 s[44:45], -1
	s_mov_b64 s[42:43], -1
	s_waitcnt lgkmcnt(0)
	v_cmp_ne_u32_e32 vcc, v21, v9
	s_and_saveexec_b64 s[40:41], vcc
	s_cbranch_execz .LBB8_20
; %bb.26:                               ;   in Loop: Header=BB8_23 Depth=2
	ds_cmpst_rtn_b32 v20, v20, v12, v9
	s_mov_b64 s[48:49], 0
	s_waitcnt lgkmcnt(0)
	v_cmp_ne_u32_e32 vcc, -1, v20
	s_and_saveexec_b64 s[42:43], vcc
	s_cbranch_execz .LBB8_19
; %bb.27:                               ;   in Loop: Header=BB8_23 Depth=2
	v_add_u32_e32 v18, 2, v19
	v_and_b32_e32 v18, 0x7f, v18
	v_lshl_add_u32 v20, v18, 2, v16
	ds_read_b32 v21, v20
	s_mov_b64 s[46:47], -1
	s_mov_b64 s[50:51], -1
	s_waitcnt lgkmcnt(0)
	v_cmp_ne_u32_e32 vcc, v21, v9
	s_and_saveexec_b64 s[44:45], vcc
	s_cbranch_execz .LBB8_18
; %bb.28:                               ;   in Loop: Header=BB8_23 Depth=2
	ds_cmpst_rtn_b32 v20, v20, v12, v9
	s_mov_b64 s[48:49], -1
	s_mov_b64 s[50:51], 0
	s_waitcnt lgkmcnt(0)
	v_cmp_ne_u32_e32 vcc, -1, v20
	s_and_saveexec_b64 s[46:47], vcc
	s_cbranch_execz .LBB8_17
; %bb.29:                               ;   in Loop: Header=BB8_23 Depth=2
	v_add_u32_e32 v18, 3, v19
	v_and_b32_e32 v18, 0x7f, v18
	v_lshl_add_u32 v20, v18, 2, v16
	ds_read_b32 v19, v20
	s_mov_b64 s[52:53], -1
	s_mov_b64 s[50:51], -1
	s_waitcnt lgkmcnt(0)
	v_cmp_ne_u32_e32 vcc, v19, v9
                                        ; implicit-def: $vgpr19
	s_and_saveexec_b64 s[48:49], vcc
	s_cbranch_execz .LBB8_16
; %bb.30:                               ;   in Loop: Header=BB8_23 Depth=2
	ds_cmpst_rtn_b32 v19, v20, v12, v9
	s_mov_b64 s[50:51], 0
	s_waitcnt lgkmcnt(0)
	v_cmp_ne_u32_e32 vcc, -1, v19
                                        ; implicit-def: $vgpr19
	s_and_saveexec_b64 s[54:55], vcc
	s_cbranch_execz .LBB8_15
; %bb.31:                               ;   in Loop: Header=BB8_23 Depth=2
	v_add_u32_e32 v17, -4, v17
	v_cmp_eq_u32_e32 vcc, 0, v17
	s_mov_b64 s[50:51], exec
	v_add_u32_e32 v19, 1, v18
	s_orn2_b64 s[52:53], vcc, exec
	s_branch .LBB8_15
.LBB8_32:                               ;   in Loop: Header=BB8_14 Depth=1
	s_or_b64 exec, exec, s[26:27]
	s_xor_b64 s[18:19], s[18:19], -1
	s_and_saveexec_b64 s[26:27], s[18:19]
	s_xor_b64 s[18:19], exec, s[26:27]
	s_cbranch_execz .LBB8_13
; %bb.33:                               ;   in Loop: Header=BB8_14 Depth=1
	v_lshl_add_u32 v9, v18, 2, v0
	ds_write_b32 v9, v8
	s_branch .LBB8_13
.LBB8_34:
	s_or_b64 exec, exec, s[0:1]
	s_waitcnt vmcnt(0)
	v_cmp_lt_i32_e32 vcc, v7, v6
	s_waitcnt lgkmcnt(0)
	s_and_saveexec_b64 s[0:1], vcc
	s_cbranch_execz .LBB8_64
; %bb.35:
	s_mov_b64 s[6:7], 0
	v_mov_b32_e32 v17, s11
	v_mov_b32_e32 v18, s13
	;; [unrolled: 1-line block ×5, first 2 shown]
	s_movk_i32 s3, 0x67
	s_branch .LBB8_38
.LBB8_36:                               ;   in Loop: Header=BB8_38 Depth=1
	s_or_b64 exec, exec, s[26:27]
	v_add_u32_e32 v7, 1, v7
	v_cmp_ge_i32_e32 vcc, v7, v6
	s_orn2_b64 s[26:27], vcc, exec
.LBB8_37:                               ;   in Loop: Header=BB8_38 Depth=1
	s_or_b64 exec, exec, s[18:19]
	s_and_b64 s[18:19], exec, s[26:27]
	s_or_b64 s[6:7], s[18:19], s[6:7]
	s_andn2_b64 exec, exec, s[6:7]
	s_cbranch_execz .LBB8_64
.LBB8_38:                               ; =>This Loop Header: Depth=1
                                        ;     Child Loop BB8_39 Depth 2
                                        ;     Child Loop BB8_44 Depth 2
                                        ;       Child Loop BB8_53 Depth 3
	v_ashrrev_i32_e32 v8, 31, v7
	v_lshlrev_b64 v[9:10], 2, v[7:8]
	s_mov_b64 s[18:19], 0
	v_add_co_u32_e32 v11, vcc, s10, v9
	v_addc_co_u32_e32 v12, vcc, v17, v10, vcc
	global_load_dword v8, v[11:12], off
	v_add_co_u32_e32 v9, vcc, s12, v9
	v_addc_co_u32_e32 v10, vcc, v18, v10, vcc
	global_load_dword v23, v[9:10], off
	s_waitcnt vmcnt(1)
	v_subrev_u32_e32 v11, s2, v8
	v_ashrrev_i32_e32 v12, 31, v11
	v_lshlrev_b64 v[11:12], 2, v[11:12]
	v_add_co_u32_e32 v25, vcc, s8, v11
	v_addc_co_u32_e32 v26, vcc, v19, v12, vcc
	v_add_co_u32_e32 v27, vcc, s14, v11
	v_addc_co_u32_e32 v28, vcc, v20, v12, vcc
	global_load_dword v8, v[25:26], off offset:4
	global_load_dword v24, v[27:28], off
	v_add_co_u32_e32 v11, vcc, s16, v11
	v_addc_co_u32_e32 v12, vcc, v21, v12, vcc
.LBB8_39:                               ;   Parent Loop BB8_38 Depth=1
                                        ; =>  This Inner Loop Header: Depth=2
	global_load_dword v22, v[11:12], off glc
	s_waitcnt vmcnt(0)
	v_cmp_ne_u32_e32 vcc, 0, v22
	s_or_b64 s[18:19], vcc, s[18:19]
	s_andn2_b64 exec, exec, s[18:19]
	s_cbranch_execnz .LBB8_39
; %bb.40:                               ;   in Loop: Header=BB8_38 Depth=1
	s_or_b64 exec, exec, s[18:19]
	v_subrev_u32_e32 v22, s2, v8
	v_add_u32_e32 v8, -1, v22
	v_cmp_eq_u32_e32 vcc, -1, v24
	v_cndmask_b32_e32 v11, v24, v8, vcc
	v_ashrrev_i32_e32 v12, 31, v11
	v_lshlrev_b64 v[24:25], 2, v[11:12]
	buffer_wbinvl1_vol
	v_add_co_u32_e32 v24, vcc, s12, v24
	v_addc_co_u32_e32 v25, vcc, v18, v25, vcc
	global_load_dword v12, v[24:25], off
	s_mov_b64 s[26:27], -1
	s_waitcnt vmcnt(0)
	v_cmp_neq_f32_e32 vcc, 0, v12
	s_and_saveexec_b64 s[18:19], vcc
	s_cbranch_execz .LBB8_37
; %bb.41:                               ;   in Loop: Header=BB8_38 Depth=1
	v_div_scale_f32 v8, s[26:27], v12, v12, v23
	v_div_scale_f32 v24, vcc, v23, v12, v23
	v_rcp_f32_e32 v25, v8
	v_fma_f32 v26, -v8, v25, 1.0
	v_fmac_f32_e32 v25, v26, v25
	v_mul_f32_e32 v26, v24, v25
	v_fma_f32 v27, -v8, v26, v24
	v_fmac_f32_e32 v26, v27, v25
	v_fma_f32 v8, -v8, v26, v24
	v_div_fmas_f32 v24, v8, v25, v26
	v_add_u32_e32 v8, 1, v13
	v_add_u32_e32 v8, v8, v11
	v_cmp_lt_i32_e32 vcc, v8, v22
	v_div_fixup_f32 v11, v24, v12, v23
	global_store_dword v[9:10], v11, off
	s_and_saveexec_b64 s[26:27], vcc
	s_cbranch_execz .LBB8_36
; %bb.42:                               ;   in Loop: Header=BB8_38 Depth=1
	s_mov_b64 s[28:29], 0
	s_branch .LBB8_44
.LBB8_43:                               ;   in Loop: Header=BB8_44 Depth=2
	s_or_b64 exec, exec, s[30:31]
	v_add_u32_e32 v8, 64, v8
	v_cmp_ge_i32_e32 vcc, v8, v22
	s_or_b64 s[28:29], vcc, s[28:29]
	s_andn2_b64 exec, exec, s[28:29]
	s_cbranch_execz .LBB8_36
.LBB8_44:                               ;   Parent Loop BB8_38 Depth=1
                                        ; =>  This Loop Header: Depth=2
                                        ;       Child Loop BB8_53 Depth 3
	v_ashrrev_i32_e32 v9, 31, v8
	v_lshlrev_b64 v[9:10], 2, v[8:9]
	s_mov_b64 s[36:37], 0
	v_add_co_u32_e32 v23, vcc, s10, v9
	v_addc_co_u32_e32 v24, vcc, v17, v10, vcc
	global_load_dword v12, v[23:24], off
	v_mov_b32_e32 v23, 0x80
                                        ; implicit-def: $sgpr30_sgpr31
                                        ; implicit-def: $sgpr38_sgpr39
                                        ; implicit-def: $sgpr40_sgpr41
	s_waitcnt vmcnt(0)
	v_mul_lo_u32 v25, v12, s3
	s_branch .LBB8_53
.LBB8_45:                               ;   in Loop: Header=BB8_53 Depth=3
	s_or_b64 exec, exec, s[60:61]
	s_orn2_b64 s[56:57], s[56:57], exec
	s_orn2_b64 s[58:59], s[58:59], exec
.LBB8_46:                               ;   in Loop: Header=BB8_53 Depth=3
	s_or_b64 exec, exec, s[54:55]
	s_and_b64 s[56:57], s[56:57], exec
	s_orn2_b64 s[54:55], s[58:59], exec
.LBB8_47:                               ;   in Loop: Header=BB8_53 Depth=3
	s_or_b64 exec, exec, s[52:53]
	s_orn2_b64 s[56:57], s[56:57], exec
	s_orn2_b64 s[52:53], s[54:55], exec
.LBB8_48:                               ;   in Loop: Header=BB8_53 Depth=3
	s_or_b64 exec, exec, s[50:51]
	s_and_b64 s[54:55], s[56:57], exec
	s_orn2_b64 s[50:51], s[52:53], exec
.LBB8_49:                               ;   in Loop: Header=BB8_53 Depth=3
	s_or_b64 exec, exec, s[48:49]
	s_orn2_b64 s[48:49], s[54:55], exec
	s_orn2_b64 s[50:51], s[50:51], exec
.LBB8_50:                               ;   in Loop: Header=BB8_53 Depth=3
	s_or_b64 exec, exec, s[46:47]
	s_and_b64 s[48:49], s[48:49], exec
	s_orn2_b64 s[46:47], s[50:51], exec
.LBB8_51:                               ;   in Loop: Header=BB8_53 Depth=3
	s_or_b64 exec, exec, s[44:45]
	s_andn2_b64 s[40:41], s[40:41], exec
	s_and_b64 s[44:45], s[48:49], exec
	s_or_b64 s[40:41], s[40:41], s[44:45]
	s_andn2_b64 s[38:39], s[38:39], exec
	s_and_b64 s[44:45], s[46:47], exec
	s_or_b64 s[38:39], s[38:39], s[44:45]
.LBB8_52:                               ;   in Loop: Header=BB8_53 Depth=3
	s_or_b64 exec, exec, s[42:43]
	s_and_b64 s[42:43], exec, s[38:39]
	s_or_b64 s[36:37], s[42:43], s[36:37]
	s_andn2_b64 s[30:31], s[30:31], exec
	s_and_b64 s[42:43], s[40:41], exec
	s_or_b64 s[30:31], s[30:31], s[42:43]
	s_andn2_b64 exec, exec, s[36:37]
	s_cbranch_execz .LBB8_62
.LBB8_53:                               ;   Parent Loop BB8_38 Depth=1
                                        ;     Parent Loop BB8_44 Depth=2
                                        ; =>    This Inner Loop Header: Depth=3
	v_and_b32_e32 v24, 0x7f, v25
	v_lshl_add_u32 v26, v24, 2, v16
	ds_read_b32 v26, v26
	s_or_b64 s[40:41], s[40:41], exec
	s_or_b64 s[38:39], s[38:39], exec
	s_waitcnt lgkmcnt(0)
	v_cmp_ne_u32_e32 vcc, -1, v26
	s_and_saveexec_b64 s[42:43], vcc
	s_cbranch_execz .LBB8_52
; %bb.54:                               ;   in Loop: Header=BB8_53 Depth=3
	v_cmp_ne_u32_e32 vcc, v26, v12
	s_mov_b64 s[46:47], -1
	s_mov_b64 s[48:49], 0
	s_and_saveexec_b64 s[44:45], vcc
	s_cbranch_execz .LBB8_51
; %bb.55:                               ;   in Loop: Header=BB8_53 Depth=3
	v_add_u32_e32 v24, 1, v25
	v_and_b32_e32 v24, 0x7f, v24
	v_lshl_add_u32 v26, v24, 2, v16
	ds_read_b32 v26, v26
	s_mov_b64 s[50:51], -1
	s_mov_b64 s[48:49], -1
	s_waitcnt lgkmcnt(0)
	v_cmp_ne_u32_e32 vcc, -1, v26
	s_and_saveexec_b64 s[46:47], vcc
	s_cbranch_execz .LBB8_50
; %bb.56:                               ;   in Loop: Header=BB8_53 Depth=3
	v_cmp_ne_u32_e32 vcc, v26, v12
	s_mov_b64 s[54:55], 0
	s_and_saveexec_b64 s[48:49], vcc
	s_cbranch_execz .LBB8_49
; %bb.57:                               ;   in Loop: Header=BB8_53 Depth=3
	v_add_u32_e32 v24, 2, v25
	v_and_b32_e32 v24, 0x7f, v24
	v_lshl_add_u32 v26, v24, 2, v16
	ds_read_b32 v26, v26
	s_mov_b64 s[52:53], -1
	s_mov_b64 s[56:57], -1
	s_waitcnt lgkmcnt(0)
	v_cmp_ne_u32_e32 vcc, -1, v26
	s_and_saveexec_b64 s[50:51], vcc
	s_cbranch_execz .LBB8_48
; %bb.58:                               ;   in Loop: Header=BB8_53 Depth=3
	v_cmp_ne_u32_e32 vcc, v26, v12
	s_mov_b64 s[54:55], -1
	s_mov_b64 s[56:57], 0
	s_and_saveexec_b64 s[52:53], vcc
	s_cbranch_execz .LBB8_47
; %bb.59:                               ;   in Loop: Header=BB8_53 Depth=3
	v_add_u32_e32 v24, 3, v25
	v_and_b32_e32 v24, 0x7f, v24
	v_lshl_add_u32 v25, v24, 2, v16
	ds_read_b32 v26, v25
	s_mov_b64 s[58:59], -1
	s_mov_b64 s[56:57], -1
                                        ; implicit-def: $vgpr25
	s_waitcnt lgkmcnt(0)
	v_cmp_ne_u32_e32 vcc, -1, v26
	s_and_saveexec_b64 s[54:55], vcc
	s_cbranch_execz .LBB8_46
; %bb.60:                               ;   in Loop: Header=BB8_53 Depth=3
	v_cmp_ne_u32_e32 vcc, v26, v12
	s_mov_b64 s[56:57], 0
                                        ; implicit-def: $vgpr25
	s_and_saveexec_b64 s[60:61], vcc
	s_cbranch_execz .LBB8_45
; %bb.61:                               ;   in Loop: Header=BB8_53 Depth=3
	v_add_u32_e32 v23, -4, v23
	v_cmp_eq_u32_e32 vcc, 0, v23
	s_mov_b64 s[56:57], exec
	v_add_u32_e32 v25, 1, v24
	s_orn2_b64 s[58:59], vcc, exec
	s_branch .LBB8_45
.LBB8_62:                               ;   in Loop: Header=BB8_44 Depth=2
	s_or_b64 exec, exec, s[36:37]
	s_xor_b64 s[30:31], s[30:31], -1
	s_and_saveexec_b64 s[36:37], s[30:31]
	s_xor_b64 s[30:31], exec, s[36:37]
	s_cbranch_execz .LBB8_43
; %bb.63:                               ;   in Loop: Header=BB8_44 Depth=2
	v_lshl_add_u32 v12, v24, 2, v0
	ds_read_b32 v23, v12
	v_mov_b32_e32 v12, s13
	v_add_co_u32_e32 v9, vcc, s12, v9
	v_addc_co_u32_e32 v10, vcc, v12, v10, vcc
	s_waitcnt lgkmcnt(0)
	v_ashrrev_i32_e32 v24, 31, v23
	v_lshlrev_b64 v[23:24], 2, v[23:24]
	v_add_co_u32_e32 v23, vcc, s12, v23
	v_addc_co_u32_e32 v24, vcc, v12, v24, vcc
	global_load_dword v12, v[9:10], off
	global_load_dword v25, v[23:24], off
	s_waitcnt vmcnt(0)
	v_fma_f32 v9, -v11, v12, v25
	global_store_dword v[23:24], v9, off
	s_branch .LBB8_43
.LBB8_64:
	s_or_b64 exec, exec, s[0:1]
	v_cmp_lt_i32_e32 vcc, -1, v6
	s_and_saveexec_b64 s[6:7], vcc
	s_cbranch_execz .LBB8_80
; %bb.65:
	v_mov_b32_e32 v7, 0
	v_lshlrev_b64 v[6:7], 2, v[6:7]
	v_mov_b32_e32 v0, s13
	v_add_co_u32_e32 v8, vcc, s12, v6
	v_addc_co_u32_e32 v9, vcc, v0, v7, vcc
	global_load_dword v0, v[8:9], off
	v_cmp_eq_u32_e64 s[0:1], 0, v13
	s_mov_b64 s[8:9], -1
	s_waitcnt vmcnt(0)
	v_cmp_gt_f32_e32 vcc, 0, v0
	v_cndmask_b32_e64 v6, v0, -v0, vcc
	v_cvt_f64_f32_e32 v[6:7], v6
	s_andn2_b64 vcc, exec, s[34:35]
	s_cbranch_vccnz .LBB8_69
; %bb.66:
	v_cvt_f64_f32_e32 v[10:11], v14
	s_cmp_eq_u64 s[24:25], 8
	s_cselect_b64 vcc, -1, 0
	v_cndmask_b32_e32 v4, v11, v4, vcc
	v_cndmask_b32_e32 v3, v10, v3, vcc
	v_cmp_ge_f64_e32 vcc, v[3:4], v[6:7]
	s_and_b64 s[10:11], s[0:1], vcc
	s_and_saveexec_b64 s[8:9], s[10:11]
	s_cbranch_execz .LBB8_68
; %bb.67:
	global_store_dword v[8:9], v15, off
	s_waitcnt vmcnt(0)
	buffer_wbinvl1_vol
.LBB8_68:
	s_or_b64 exec, exec, s[8:9]
	s_mov_b64 s[8:9], 0
.LBB8_69:
	s_andn2_b64 vcc, exec, s[8:9]
	s_cbranch_vccnz .LBB8_80
; %bb.70:
	s_load_dwordx2 s[4:5], s[4:5], 0x48
	v_add_u32_e32 v3, s2, v5
	s_waitcnt lgkmcnt(0)
	v_cmp_ge_f64_e32 vcc, s[4:5], v[6:7]
	s_and_b64 s[4:5], s[0:1], vcc
	s_and_saveexec_b64 s[2:3], s[4:5]
	s_cbranch_execz .LBB8_75
; %bb.71:
	s_mov_b64 s[4:5], exec
	s_brev_b32 s8, -2
.LBB8_72:                               ; =>This Inner Loop Header: Depth=1
	s_ff1_i32_b64 s9, s[4:5]
	v_readlane_b32 s12, v3, s9
	s_lshl_b64 s[10:11], 1, s9
	s_min_i32 s8, s8, s12
	s_andn2_b64 s[4:5], s[4:5], s[10:11]
	s_cmp_lg_u64 s[4:5], 0
	s_cbranch_scc1 .LBB8_72
; %bb.73:
	v_mbcnt_lo_u32_b32 v4, exec_lo, 0
	v_mbcnt_hi_u32_b32 v4, exec_hi, v4
	v_cmp_eq_u32_e32 vcc, 0, v4
	s_and_saveexec_b64 s[4:5], vcc
	s_xor_b64 s[4:5], exec, s[4:5]
	s_cbranch_execz .LBB8_75
; %bb.74:
	v_mov_b32_e32 v4, 0
	v_mov_b32_e32 v5, s8
	global_atomic_smin v4, v5, s[22:23]
.LBB8_75:
	s_or_b64 exec, exec, s[2:3]
	v_cmp_eq_f32_e32 vcc, 0, v0
	s_and_b64 s[0:1], s[0:1], vcc
	s_and_b64 exec, exec, s[0:1]
	s_cbranch_execz .LBB8_80
; %bb.76:
	s_mov_b64 s[0:1], exec
	s_brev_b32 s2, -2
.LBB8_77:                               ; =>This Inner Loop Header: Depth=1
	s_ff1_i32_b64 s3, s[0:1]
	v_readlane_b32 s8, v3, s3
	s_lshl_b64 s[4:5], 1, s3
	s_min_i32 s2, s2, s8
	s_andn2_b64 s[0:1], s[0:1], s[4:5]
	s_cmp_lg_u64 s[0:1], 0
	s_cbranch_scc1 .LBB8_77
; %bb.78:
	v_mbcnt_lo_u32_b32 v0, exec_lo, 0
	v_mbcnt_hi_u32_b32 v0, exec_hi, v0
	v_cmp_eq_u32_e32 vcc, 0, v0
	s_and_saveexec_b64 s[0:1], vcc
	s_xor_b64 s[0:1], exec, s[0:1]
	s_cbranch_execz .LBB8_80
; %bb.79:
	v_mov_b32_e32 v0, 0
	v_mov_b32_e32 v3, s2
	global_atomic_smin v0, v3, s[20:21]
.LBB8_80:
	s_or_b64 exec, exec, s[6:7]
	v_cmp_eq_u32_e32 vcc, 0, v13
	s_waitcnt vmcnt(0)
	buffer_wbinvl1_vol
	s_and_b64 exec, exec, vcc
	s_cbranch_execz .LBB8_82
; %bb.81:
	v_mov_b32_e32 v3, s17
	v_add_co_u32_e32 v0, vcc, s16, v1
	v_addc_co_u32_e32 v1, vcc, v3, v2, vcc
	v_mov_b32_e32 v2, 1
	global_store_dword v[0:1], v2, off
.LBB8_82:
	s_endpgm
	.section	.rodata,"a",@progbits
	.p2align	6, 0x0
	.amdhsa_kernel _ZN9rocsparseL12csrilu0_hashILj256ELj64ELj2EfEEviPKiS2_PT2_S2_PiS2_S5_S5_d21rocsparse_index_base_imNS_24const_host_device_scalarIfEENS7_IdEENS7_IS3_EEb
		.amdhsa_group_segment_fixed_size 4096
		.amdhsa_private_segment_fixed_size 0
		.amdhsa_kernarg_size 124
		.amdhsa_user_sgpr_count 6
		.amdhsa_user_sgpr_private_segment_buffer 1
		.amdhsa_user_sgpr_dispatch_ptr 0
		.amdhsa_user_sgpr_queue_ptr 0
		.amdhsa_user_sgpr_kernarg_segment_ptr 1
		.amdhsa_user_sgpr_dispatch_id 0
		.amdhsa_user_sgpr_flat_scratch_init 0
		.amdhsa_user_sgpr_private_segment_size 0
		.amdhsa_uses_dynamic_stack 0
		.amdhsa_system_sgpr_private_segment_wavefront_offset 0
		.amdhsa_system_sgpr_workgroup_id_x 1
		.amdhsa_system_sgpr_workgroup_id_y 0
		.amdhsa_system_sgpr_workgroup_id_z 0
		.amdhsa_system_sgpr_workgroup_info 0
		.amdhsa_system_vgpr_workitem_id 0
		.amdhsa_next_free_vgpr 29
		.amdhsa_next_free_sgpr 62
		.amdhsa_reserve_vcc 1
		.amdhsa_reserve_flat_scratch 0
		.amdhsa_float_round_mode_32 0
		.amdhsa_float_round_mode_16_64 0
		.amdhsa_float_denorm_mode_32 3
		.amdhsa_float_denorm_mode_16_64 3
		.amdhsa_dx10_clamp 1
		.amdhsa_ieee_mode 1
		.amdhsa_fp16_overflow 0
		.amdhsa_exception_fp_ieee_invalid_op 0
		.amdhsa_exception_fp_denorm_src 0
		.amdhsa_exception_fp_ieee_div_zero 0
		.amdhsa_exception_fp_ieee_overflow 0
		.amdhsa_exception_fp_ieee_underflow 0
		.amdhsa_exception_fp_ieee_inexact 0
		.amdhsa_exception_int_div_zero 0
	.end_amdhsa_kernel
	.section	.text._ZN9rocsparseL12csrilu0_hashILj256ELj64ELj2EfEEviPKiS2_PT2_S2_PiS2_S5_S5_d21rocsparse_index_base_imNS_24const_host_device_scalarIfEENS7_IdEENS7_IS3_EEb,"axG",@progbits,_ZN9rocsparseL12csrilu0_hashILj256ELj64ELj2EfEEviPKiS2_PT2_S2_PiS2_S5_S5_d21rocsparse_index_base_imNS_24const_host_device_scalarIfEENS7_IdEENS7_IS3_EEb,comdat
.Lfunc_end8:
	.size	_ZN9rocsparseL12csrilu0_hashILj256ELj64ELj2EfEEviPKiS2_PT2_S2_PiS2_S5_S5_d21rocsparse_index_base_imNS_24const_host_device_scalarIfEENS7_IdEENS7_IS3_EEb, .Lfunc_end8-_ZN9rocsparseL12csrilu0_hashILj256ELj64ELj2EfEEviPKiS2_PT2_S2_PiS2_S5_S5_d21rocsparse_index_base_imNS_24const_host_device_scalarIfEENS7_IdEENS7_IS3_EEb
                                        ; -- End function
	.set _ZN9rocsparseL12csrilu0_hashILj256ELj64ELj2EfEEviPKiS2_PT2_S2_PiS2_S5_S5_d21rocsparse_index_base_imNS_24const_host_device_scalarIfEENS7_IdEENS7_IS3_EEb.num_vgpr, 29
	.set _ZN9rocsparseL12csrilu0_hashILj256ELj64ELj2EfEEviPKiS2_PT2_S2_PiS2_S5_S5_d21rocsparse_index_base_imNS_24const_host_device_scalarIfEENS7_IdEENS7_IS3_EEb.num_agpr, 0
	.set _ZN9rocsparseL12csrilu0_hashILj256ELj64ELj2EfEEviPKiS2_PT2_S2_PiS2_S5_S5_d21rocsparse_index_base_imNS_24const_host_device_scalarIfEENS7_IdEENS7_IS3_EEb.numbered_sgpr, 62
	.set _ZN9rocsparseL12csrilu0_hashILj256ELj64ELj2EfEEviPKiS2_PT2_S2_PiS2_S5_S5_d21rocsparse_index_base_imNS_24const_host_device_scalarIfEENS7_IdEENS7_IS3_EEb.num_named_barrier, 0
	.set _ZN9rocsparseL12csrilu0_hashILj256ELj64ELj2EfEEviPKiS2_PT2_S2_PiS2_S5_S5_d21rocsparse_index_base_imNS_24const_host_device_scalarIfEENS7_IdEENS7_IS3_EEb.private_seg_size, 0
	.set _ZN9rocsparseL12csrilu0_hashILj256ELj64ELj2EfEEviPKiS2_PT2_S2_PiS2_S5_S5_d21rocsparse_index_base_imNS_24const_host_device_scalarIfEENS7_IdEENS7_IS3_EEb.uses_vcc, 1
	.set _ZN9rocsparseL12csrilu0_hashILj256ELj64ELj2EfEEviPKiS2_PT2_S2_PiS2_S5_S5_d21rocsparse_index_base_imNS_24const_host_device_scalarIfEENS7_IdEENS7_IS3_EEb.uses_flat_scratch, 0
	.set _ZN9rocsparseL12csrilu0_hashILj256ELj64ELj2EfEEviPKiS2_PT2_S2_PiS2_S5_S5_d21rocsparse_index_base_imNS_24const_host_device_scalarIfEENS7_IdEENS7_IS3_EEb.has_dyn_sized_stack, 0
	.set _ZN9rocsparseL12csrilu0_hashILj256ELj64ELj2EfEEviPKiS2_PT2_S2_PiS2_S5_S5_d21rocsparse_index_base_imNS_24const_host_device_scalarIfEENS7_IdEENS7_IS3_EEb.has_recursion, 0
	.set _ZN9rocsparseL12csrilu0_hashILj256ELj64ELj2EfEEviPKiS2_PT2_S2_PiS2_S5_S5_d21rocsparse_index_base_imNS_24const_host_device_scalarIfEENS7_IdEENS7_IS3_EEb.has_indirect_call, 0
	.section	.AMDGPU.csdata,"",@progbits
; Kernel info:
; codeLenInByte = 2560
; TotalNumSgprs: 66
; NumVgprs: 29
; ScratchSize: 0
; MemoryBound: 0
; FloatMode: 240
; IeeeMode: 1
; LDSByteSize: 4096 bytes/workgroup (compile time only)
; SGPRBlocks: 8
; VGPRBlocks: 7
; NumSGPRsForWavesPerEU: 66
; NumVGPRsForWavesPerEU: 29
; Occupancy: 8
; WaveLimiterHint : 1
; COMPUTE_PGM_RSRC2:SCRATCH_EN: 0
; COMPUTE_PGM_RSRC2:USER_SGPR: 6
; COMPUTE_PGM_RSRC2:TRAP_HANDLER: 0
; COMPUTE_PGM_RSRC2:TGID_X_EN: 1
; COMPUTE_PGM_RSRC2:TGID_Y_EN: 0
; COMPUTE_PGM_RSRC2:TGID_Z_EN: 0
; COMPUTE_PGM_RSRC2:TIDIG_COMP_CNT: 0
	.section	.text._ZN9rocsparseL12csrilu0_hashILj256ELj64ELj4EfEEviPKiS2_PT2_S2_PiS2_S5_S5_d21rocsparse_index_base_imNS_24const_host_device_scalarIfEENS7_IdEENS7_IS3_EEb,"axG",@progbits,_ZN9rocsparseL12csrilu0_hashILj256ELj64ELj4EfEEviPKiS2_PT2_S2_PiS2_S5_S5_d21rocsparse_index_base_imNS_24const_host_device_scalarIfEENS7_IdEENS7_IS3_EEb,comdat
	.globl	_ZN9rocsparseL12csrilu0_hashILj256ELj64ELj4EfEEviPKiS2_PT2_S2_PiS2_S5_S5_d21rocsparse_index_base_imNS_24const_host_device_scalarIfEENS7_IdEENS7_IS3_EEb ; -- Begin function _ZN9rocsparseL12csrilu0_hashILj256ELj64ELj4EfEEviPKiS2_PT2_S2_PiS2_S5_S5_d21rocsparse_index_base_imNS_24const_host_device_scalarIfEENS7_IdEENS7_IS3_EEb
	.p2align	8
	.type	_ZN9rocsparseL12csrilu0_hashILj256ELj64ELj4EfEEviPKiS2_PT2_S2_PiS2_S5_S5_d21rocsparse_index_base_imNS_24const_host_device_scalarIfEENS7_IdEENS7_IS3_EEb,@function
_ZN9rocsparseL12csrilu0_hashILj256ELj64ELj4EfEEviPKiS2_PT2_S2_PiS2_S5_S5_d21rocsparse_index_base_imNS_24const_host_device_scalarIfEENS7_IdEENS7_IS3_EEb: ; @_ZN9rocsparseL12csrilu0_hashILj256ELj64ELj4EfEEviPKiS2_PT2_S2_PiS2_S5_S5_d21rocsparse_index_base_imNS_24const_host_device_scalarIfEENS7_IdEENS7_IS3_EEb
; %bb.0:
	s_load_dword s0, s[4:5], 0x78
	s_load_dwordx2 s[2:3], s[4:5], 0x50
	s_load_dwordx8 s[24:31], s[4:5], 0x58
	s_waitcnt lgkmcnt(0)
	s_bitcmp1_b32 s0, 0
	s_cselect_b64 s[0:1], -1, 0
	s_cmp_eq_u32 s3, 0
	s_cselect_b64 s[8:9], -1, 0
	s_cmp_lg_u32 s3, 0
	s_cselect_b64 s[34:35], -1, 0
	s_or_b64 s[0:1], s[8:9], s[0:1]
	s_xor_b64 s[10:11], s[0:1], -1
	s_and_b64 s[12:13], s[8:9], exec
	s_cselect_b32 s13, 0, s29
	s_cselect_b32 s12, 0, s28
	s_and_b64 vcc, exec, s[0:1]
	s_cbranch_vccnz .LBB9_2
; %bb.1:
	s_load_dword s0, s[26:27], 0x0
	s_mov_b64 s[12:13], s[28:29]
	s_waitcnt lgkmcnt(0)
	v_mov_b32_e32 v14, s0
	s_branch .LBB9_3
.LBB9_2:
	v_mov_b32_e32 v1, s26
	v_cndmask_b32_e64 v14, v1, 0, s[8:9]
.LBB9_3:
	v_cndmask_b32_e64 v1, 0, 1, s[10:11]
	v_mov_b32_e32 v3, s12
	v_cmp_ne_u32_e64 s[0:1], 1, v1
	s_andn2_b64 vcc, exec, s[10:11]
	v_mov_b32_e32 v4, s13
	s_cbranch_vccnz .LBB9_5
; %bb.4:
	v_mov_b32_e32 v1, s28
	v_mov_b32_e32 v2, s29
	flat_load_dwordx2 v[3:4], v[1:2]
.LBB9_5:
	s_and_b64 vcc, exec, s[0:1]
	s_cbranch_vccnz .LBB9_7
; %bb.6:
	s_load_dword s0, s[30:31], 0x0
	s_waitcnt lgkmcnt(0)
	v_mov_b32_e32 v15, s0
	s_branch .LBB9_8
.LBB9_7:
	v_mov_b32_e32 v1, s30
	v_cndmask_b32_e64 v15, v1, 0, s[8:9]
.LBB9_8:
	v_and_b32_e32 v13, 63, v0
	v_lshrrev_b32_e32 v1, 6, v0
	v_lshlrev_b32_e32 v5, 10, v1
	v_lshlrev_b32_e32 v6, 2, v13
	s_movk_i32 s0, 0x1000
	v_or_b32_e32 v2, 0xffffffc0, v13
	v_or3_b32 v5, v5, v6, s0
	s_mov_b64 s[0:1], 0
	v_mov_b32_e32 v6, -1
	s_movk_i32 s3, 0xbf
.LBB9_9:                                ; =>This Inner Loop Header: Depth=1
	v_add_u32_e32 v2, 64, v2
	v_cmp_lt_u32_e32 vcc, s3, v2
	ds_write_b32 v5, v6
	s_or_b64 s[0:1], vcc, s[0:1]
	v_add_u32_e32 v5, 0x100, v5
	s_andn2_b64 exec, exec, s[0:1]
	s_cbranch_execnz .LBB9_9
; %bb.10:
	s_or_b64 exec, exec, s[0:1]
	s_load_dword s0, s[4:5], 0x0
	s_lshl_b32 s1, s6, 2
	s_and_b32 s1, s1, 0x3fffffc
	v_or_b32_e32 v1, s1, v1
	s_waitcnt lgkmcnt(0)
	v_cmp_gt_i32_e32 vcc, s0, v1
	s_and_saveexec_b64 s[0:1], vcc
	s_cbranch_execz .LBB9_82
; %bb.11:
	s_load_dwordx16 s[8:23], s[4:5], 0x8
	v_lshlrev_b32_e32 v1, 2, v1
	v_lshlrev_b32_e32 v0, 4, v0
	v_and_b32_e32 v0, 0xc00, v0
	v_or_b32_e32 v16, 0x1000, v0
	s_waitcnt lgkmcnt(0)
	global_load_dword v5, v1, s[18:19]
	v_mov_b32_e32 v7, s9
	v_mov_b32_e32 v10, s15
	s_waitcnt vmcnt(0)
	v_ashrrev_i32_e32 v6, 31, v5
	v_lshlrev_b64 v[1:2], 2, v[5:6]
	v_add_co_u32_e32 v6, vcc, s8, v1
	v_addc_co_u32_e32 v7, vcc, v7, v2, vcc
	global_load_dwordx2 v[7:8], v[6:7], off
	v_add_co_u32_e32 v9, vcc, s14, v1
	v_addc_co_u32_e32 v10, vcc, v10, v2, vcc
	global_load_dword v6, v[9:10], off
	s_waitcnt vmcnt(1)
	v_subrev_u32_e32 v7, s2, v7
	v_subrev_u32_e32 v10, s2, v8
	v_add_u32_e32 v8, v7, v13
	v_cmp_lt_i32_e32 vcc, v8, v10
	s_and_saveexec_b64 s[0:1], vcc
	s_cbranch_execz .LBB9_34
; %bb.12:
	s_mov_b64 s[6:7], 0
	v_mov_b32_e32 v11, s11
	s_movk_i32 s3, 0x67
	v_mov_b32_e32 v12, -1
	s_branch .LBB9_14
.LBB9_13:                               ;   in Loop: Header=BB9_14 Depth=1
	s_or_b64 exec, exec, s[18:19]
	v_add_u32_e32 v8, 64, v8
	v_cmp_ge_i32_e32 vcc, v8, v10
	s_or_b64 s[6:7], vcc, s[6:7]
	s_andn2_b64 exec, exec, s[6:7]
	s_cbranch_execz .LBB9_34
.LBB9_14:                               ; =>This Loop Header: Depth=1
                                        ;     Child Loop BB9_23 Depth 2
	v_ashrrev_i32_e32 v9, 31, v8
	v_lshlrev_b64 v[17:18], 2, v[8:9]
	s_mov_b64 s[26:27], 0
	v_add_co_u32_e32 v17, vcc, s10, v17
	v_addc_co_u32_e32 v18, vcc, v11, v18, vcc
	global_load_dword v9, v[17:18], off
	v_mov_b32_e32 v17, 0x100
                                        ; implicit-def: $sgpr18_sgpr19
                                        ; implicit-def: $sgpr28_sgpr29
                                        ; implicit-def: $sgpr30_sgpr31
	s_waitcnt vmcnt(0)
	v_mul_lo_u32 v19, v9, s3
	s_branch .LBB9_23
.LBB9_15:                               ;   in Loop: Header=BB9_23 Depth=2
	s_or_b64 exec, exec, s[54:55]
	s_orn2_b64 s[50:51], s[50:51], exec
	s_orn2_b64 s[52:53], s[52:53], exec
.LBB9_16:                               ;   in Loop: Header=BB9_23 Depth=2
	s_or_b64 exec, exec, s[48:49]
	s_and_b64 s[50:51], s[50:51], exec
	s_orn2_b64 s[48:49], s[52:53], exec
.LBB9_17:                               ;   in Loop: Header=BB9_23 Depth=2
	s_or_b64 exec, exec, s[46:47]
	s_orn2_b64 s[50:51], s[50:51], exec
	s_orn2_b64 s[46:47], s[48:49], exec
.LBB9_18:                               ;   in Loop: Header=BB9_23 Depth=2
	s_or_b64 exec, exec, s[44:45]
	s_and_b64 s[48:49], s[50:51], exec
	s_orn2_b64 s[44:45], s[46:47], exec
.LBB9_19:                               ;   in Loop: Header=BB9_23 Depth=2
	s_or_b64 exec, exec, s[42:43]
	s_orn2_b64 s[42:43], s[48:49], exec
	s_orn2_b64 s[44:45], s[44:45], exec
.LBB9_20:                               ;   in Loop: Header=BB9_23 Depth=2
	s_or_b64 exec, exec, s[40:41]
	s_and_b64 s[42:43], s[42:43], exec
	s_orn2_b64 s[40:41], s[44:45], exec
.LBB9_21:                               ;   in Loop: Header=BB9_23 Depth=2
	s_or_b64 exec, exec, s[38:39]
	s_andn2_b64 s[30:31], s[30:31], exec
	s_and_b64 s[38:39], s[42:43], exec
	s_or_b64 s[30:31], s[30:31], s[38:39]
	s_andn2_b64 s[28:29], s[28:29], exec
	s_and_b64 s[38:39], s[40:41], exec
	s_or_b64 s[28:29], s[28:29], s[38:39]
.LBB9_22:                               ;   in Loop: Header=BB9_23 Depth=2
	s_or_b64 exec, exec, s[36:37]
	s_and_b64 s[36:37], exec, s[28:29]
	s_or_b64 s[26:27], s[36:37], s[26:27]
	s_andn2_b64 s[18:19], s[18:19], exec
	s_and_b64 s[36:37], s[30:31], exec
	s_or_b64 s[18:19], s[18:19], s[36:37]
	s_andn2_b64 exec, exec, s[26:27]
	s_cbranch_execz .LBB9_32
.LBB9_23:                               ;   Parent Loop BB9_14 Depth=1
                                        ; =>  This Inner Loop Header: Depth=2
	v_and_b32_e32 v18, 0xff, v19
	v_lshl_add_u32 v20, v18, 2, v16
	ds_read_b32 v21, v20
	s_or_b64 s[30:31], s[30:31], exec
	s_or_b64 s[28:29], s[28:29], exec
	s_waitcnt lgkmcnt(0)
	v_cmp_ne_u32_e32 vcc, v21, v9
	s_and_saveexec_b64 s[36:37], vcc
	s_cbranch_execz .LBB9_22
; %bb.24:                               ;   in Loop: Header=BB9_23 Depth=2
	ds_cmpst_rtn_b32 v20, v20, v12, v9
	s_mov_b64 s[40:41], -1
	s_mov_b64 s[42:43], 0
	s_waitcnt lgkmcnt(0)
	v_cmp_ne_u32_e32 vcc, -1, v20
	s_and_saveexec_b64 s[38:39], vcc
	s_cbranch_execz .LBB9_21
; %bb.25:                               ;   in Loop: Header=BB9_23 Depth=2
	v_add_u32_e32 v18, 1, v19
	v_and_b32_e32 v18, 0xff, v18
	v_lshl_add_u32 v20, v18, 2, v16
	ds_read_b32 v21, v20
	s_mov_b64 s[44:45], -1
	s_mov_b64 s[42:43], -1
	s_waitcnt lgkmcnt(0)
	v_cmp_ne_u32_e32 vcc, v21, v9
	s_and_saveexec_b64 s[40:41], vcc
	s_cbranch_execz .LBB9_20
; %bb.26:                               ;   in Loop: Header=BB9_23 Depth=2
	ds_cmpst_rtn_b32 v20, v20, v12, v9
	s_mov_b64 s[48:49], 0
	s_waitcnt lgkmcnt(0)
	v_cmp_ne_u32_e32 vcc, -1, v20
	s_and_saveexec_b64 s[42:43], vcc
	s_cbranch_execz .LBB9_19
; %bb.27:                               ;   in Loop: Header=BB9_23 Depth=2
	v_add_u32_e32 v18, 2, v19
	v_and_b32_e32 v18, 0xff, v18
	v_lshl_add_u32 v20, v18, 2, v16
	ds_read_b32 v21, v20
	s_mov_b64 s[46:47], -1
	s_mov_b64 s[50:51], -1
	s_waitcnt lgkmcnt(0)
	v_cmp_ne_u32_e32 vcc, v21, v9
	s_and_saveexec_b64 s[44:45], vcc
	s_cbranch_execz .LBB9_18
; %bb.28:                               ;   in Loop: Header=BB9_23 Depth=2
	ds_cmpst_rtn_b32 v20, v20, v12, v9
	s_mov_b64 s[48:49], -1
	s_mov_b64 s[50:51], 0
	s_waitcnt lgkmcnt(0)
	v_cmp_ne_u32_e32 vcc, -1, v20
	s_and_saveexec_b64 s[46:47], vcc
	s_cbranch_execz .LBB9_17
; %bb.29:                               ;   in Loop: Header=BB9_23 Depth=2
	v_add_u32_e32 v18, 3, v19
	v_and_b32_e32 v18, 0xff, v18
	v_lshl_add_u32 v20, v18, 2, v16
	ds_read_b32 v19, v20
	s_mov_b64 s[52:53], -1
	s_mov_b64 s[50:51], -1
	s_waitcnt lgkmcnt(0)
	v_cmp_ne_u32_e32 vcc, v19, v9
                                        ; implicit-def: $vgpr19
	s_and_saveexec_b64 s[48:49], vcc
	s_cbranch_execz .LBB9_16
; %bb.30:                               ;   in Loop: Header=BB9_23 Depth=2
	ds_cmpst_rtn_b32 v19, v20, v12, v9
	s_mov_b64 s[50:51], 0
	s_waitcnt lgkmcnt(0)
	v_cmp_ne_u32_e32 vcc, -1, v19
                                        ; implicit-def: $vgpr19
	s_and_saveexec_b64 s[54:55], vcc
	s_cbranch_execz .LBB9_15
; %bb.31:                               ;   in Loop: Header=BB9_23 Depth=2
	v_add_u32_e32 v17, -4, v17
	v_cmp_eq_u32_e32 vcc, 0, v17
	s_mov_b64 s[50:51], exec
	v_add_u32_e32 v19, 1, v18
	s_orn2_b64 s[52:53], vcc, exec
	s_branch .LBB9_15
.LBB9_32:                               ;   in Loop: Header=BB9_14 Depth=1
	s_or_b64 exec, exec, s[26:27]
	s_xor_b64 s[18:19], s[18:19], -1
	s_and_saveexec_b64 s[26:27], s[18:19]
	s_xor_b64 s[18:19], exec, s[26:27]
	s_cbranch_execz .LBB9_13
; %bb.33:                               ;   in Loop: Header=BB9_14 Depth=1
	v_lshl_add_u32 v9, v18, 2, v0
	ds_write_b32 v9, v8
	s_branch .LBB9_13
.LBB9_34:
	s_or_b64 exec, exec, s[0:1]
	s_waitcnt vmcnt(0)
	v_cmp_lt_i32_e32 vcc, v7, v6
	s_waitcnt lgkmcnt(0)
	s_and_saveexec_b64 s[0:1], vcc
	s_cbranch_execz .LBB9_64
; %bb.35:
	v_add_u32_e32 v17, 1, v13
	s_mov_b64 s[6:7], 0
	v_mov_b32_e32 v18, s11
	v_mov_b32_e32 v19, s13
	;; [unrolled: 1-line block ×5, first 2 shown]
	s_movk_i32 s3, 0x67
	s_branch .LBB9_38
.LBB9_36:                               ;   in Loop: Header=BB9_38 Depth=1
	s_or_b64 exec, exec, s[26:27]
	v_add_u32_e32 v7, 1, v7
	v_cmp_ge_i32_e32 vcc, v7, v6
	s_orn2_b64 s[26:27], vcc, exec
.LBB9_37:                               ;   in Loop: Header=BB9_38 Depth=1
	s_or_b64 exec, exec, s[18:19]
	s_and_b64 s[18:19], exec, s[26:27]
	s_or_b64 s[6:7], s[18:19], s[6:7]
	s_andn2_b64 exec, exec, s[6:7]
	s_cbranch_execz .LBB9_64
.LBB9_38:                               ; =>This Loop Header: Depth=1
                                        ;     Child Loop BB9_39 Depth 2
                                        ;     Child Loop BB9_44 Depth 2
                                        ;       Child Loop BB9_53 Depth 3
	v_ashrrev_i32_e32 v8, 31, v7
	v_lshlrev_b64 v[9:10], 2, v[7:8]
	s_mov_b64 s[18:19], 0
	v_add_co_u32_e32 v11, vcc, s10, v9
	v_addc_co_u32_e32 v12, vcc, v18, v10, vcc
	global_load_dword v8, v[11:12], off
	v_add_co_u32_e32 v9, vcc, s12, v9
	v_addc_co_u32_e32 v10, vcc, v19, v10, vcc
	global_load_dword v24, v[9:10], off
	s_waitcnt vmcnt(1)
	v_subrev_u32_e32 v11, s2, v8
	v_ashrrev_i32_e32 v12, 31, v11
	v_lshlrev_b64 v[11:12], 2, v[11:12]
	v_add_co_u32_e32 v26, vcc, s8, v11
	v_addc_co_u32_e32 v27, vcc, v20, v12, vcc
	v_add_co_u32_e32 v28, vcc, s14, v11
	v_addc_co_u32_e32 v29, vcc, v21, v12, vcc
	global_load_dword v8, v[26:27], off offset:4
	global_load_dword v25, v[28:29], off
	v_add_co_u32_e32 v11, vcc, s16, v11
	v_addc_co_u32_e32 v12, vcc, v22, v12, vcc
.LBB9_39:                               ;   Parent Loop BB9_38 Depth=1
                                        ; =>  This Inner Loop Header: Depth=2
	global_load_dword v23, v[11:12], off glc
	s_waitcnt vmcnt(0)
	v_cmp_ne_u32_e32 vcc, 0, v23
	s_or_b64 s[18:19], vcc, s[18:19]
	s_andn2_b64 exec, exec, s[18:19]
	s_cbranch_execnz .LBB9_39
; %bb.40:                               ;   in Loop: Header=BB9_38 Depth=1
	s_or_b64 exec, exec, s[18:19]
	v_subrev_u32_e32 v23, s2, v8
	v_add_u32_e32 v8, -1, v23
	v_cmp_eq_u32_e32 vcc, -1, v25
	v_cndmask_b32_e32 v11, v25, v8, vcc
	v_ashrrev_i32_e32 v12, 31, v11
	v_lshlrev_b64 v[25:26], 2, v[11:12]
	buffer_wbinvl1_vol
	v_add_co_u32_e32 v25, vcc, s12, v25
	v_addc_co_u32_e32 v26, vcc, v19, v26, vcc
	global_load_dword v12, v[25:26], off
	s_mov_b64 s[26:27], -1
	s_waitcnt vmcnt(0)
	v_cmp_neq_f32_e32 vcc, 0, v12
	s_and_saveexec_b64 s[18:19], vcc
	s_cbranch_execz .LBB9_37
; %bb.41:                               ;   in Loop: Header=BB9_38 Depth=1
	v_div_scale_f32 v8, s[26:27], v12, v12, v24
	v_div_scale_f32 v25, vcc, v24, v12, v24
	v_rcp_f32_e32 v26, v8
	v_fma_f32 v27, -v8, v26, 1.0
	v_fmac_f32_e32 v26, v27, v26
	v_mul_f32_e32 v27, v25, v26
	v_fma_f32 v28, -v8, v27, v25
	v_fmac_f32_e32 v27, v28, v26
	v_fma_f32 v8, -v8, v27, v25
	v_div_fmas_f32 v25, v8, v26, v27
	v_add_u32_e32 v8, v17, v11
	v_cmp_lt_i32_e32 vcc, v8, v23
	v_div_fixup_f32 v11, v25, v12, v24
	global_store_dword v[9:10], v11, off
	s_and_saveexec_b64 s[26:27], vcc
	s_cbranch_execz .LBB9_36
; %bb.42:                               ;   in Loop: Header=BB9_38 Depth=1
	s_mov_b64 s[28:29], 0
	s_branch .LBB9_44
.LBB9_43:                               ;   in Loop: Header=BB9_44 Depth=2
	s_or_b64 exec, exec, s[30:31]
	v_add_u32_e32 v8, 64, v8
	v_cmp_ge_i32_e32 vcc, v8, v23
	s_or_b64 s[28:29], vcc, s[28:29]
	s_andn2_b64 exec, exec, s[28:29]
	s_cbranch_execz .LBB9_36
.LBB9_44:                               ;   Parent Loop BB9_38 Depth=1
                                        ; =>  This Loop Header: Depth=2
                                        ;       Child Loop BB9_53 Depth 3
	v_ashrrev_i32_e32 v9, 31, v8
	v_lshlrev_b64 v[9:10], 2, v[8:9]
	s_mov_b64 s[36:37], 0
	v_add_co_u32_e32 v24, vcc, s10, v9
	v_addc_co_u32_e32 v25, vcc, v18, v10, vcc
	global_load_dword v12, v[24:25], off
	v_mov_b32_e32 v24, 0x100
                                        ; implicit-def: $sgpr30_sgpr31
                                        ; implicit-def: $sgpr38_sgpr39
                                        ; implicit-def: $sgpr40_sgpr41
	s_waitcnt vmcnt(0)
	v_mul_lo_u32 v26, v12, s3
	s_branch .LBB9_53
.LBB9_45:                               ;   in Loop: Header=BB9_53 Depth=3
	s_or_b64 exec, exec, s[60:61]
	s_orn2_b64 s[56:57], s[56:57], exec
	s_orn2_b64 s[58:59], s[58:59], exec
.LBB9_46:                               ;   in Loop: Header=BB9_53 Depth=3
	s_or_b64 exec, exec, s[54:55]
	s_and_b64 s[56:57], s[56:57], exec
	s_orn2_b64 s[54:55], s[58:59], exec
.LBB9_47:                               ;   in Loop: Header=BB9_53 Depth=3
	s_or_b64 exec, exec, s[52:53]
	s_orn2_b64 s[56:57], s[56:57], exec
	s_orn2_b64 s[52:53], s[54:55], exec
.LBB9_48:                               ;   in Loop: Header=BB9_53 Depth=3
	s_or_b64 exec, exec, s[50:51]
	s_and_b64 s[54:55], s[56:57], exec
	s_orn2_b64 s[50:51], s[52:53], exec
.LBB9_49:                               ;   in Loop: Header=BB9_53 Depth=3
	s_or_b64 exec, exec, s[48:49]
	s_orn2_b64 s[48:49], s[54:55], exec
	s_orn2_b64 s[50:51], s[50:51], exec
.LBB9_50:                               ;   in Loop: Header=BB9_53 Depth=3
	s_or_b64 exec, exec, s[46:47]
	s_and_b64 s[48:49], s[48:49], exec
	s_orn2_b64 s[46:47], s[50:51], exec
.LBB9_51:                               ;   in Loop: Header=BB9_53 Depth=3
	s_or_b64 exec, exec, s[44:45]
	s_andn2_b64 s[40:41], s[40:41], exec
	s_and_b64 s[44:45], s[48:49], exec
	s_or_b64 s[40:41], s[40:41], s[44:45]
	s_andn2_b64 s[38:39], s[38:39], exec
	s_and_b64 s[44:45], s[46:47], exec
	s_or_b64 s[38:39], s[38:39], s[44:45]
.LBB9_52:                               ;   in Loop: Header=BB9_53 Depth=3
	s_or_b64 exec, exec, s[42:43]
	s_and_b64 s[42:43], exec, s[38:39]
	s_or_b64 s[36:37], s[42:43], s[36:37]
	s_andn2_b64 s[30:31], s[30:31], exec
	s_and_b64 s[42:43], s[40:41], exec
	s_or_b64 s[30:31], s[30:31], s[42:43]
	s_andn2_b64 exec, exec, s[36:37]
	s_cbranch_execz .LBB9_62
.LBB9_53:                               ;   Parent Loop BB9_38 Depth=1
                                        ;     Parent Loop BB9_44 Depth=2
                                        ; =>    This Inner Loop Header: Depth=3
	v_and_b32_e32 v25, 0xff, v26
	v_lshl_add_u32 v27, v25, 2, v16
	ds_read_b32 v27, v27
	s_or_b64 s[40:41], s[40:41], exec
	s_or_b64 s[38:39], s[38:39], exec
	s_waitcnt lgkmcnt(0)
	v_cmp_ne_u32_e32 vcc, -1, v27
	s_and_saveexec_b64 s[42:43], vcc
	s_cbranch_execz .LBB9_52
; %bb.54:                               ;   in Loop: Header=BB9_53 Depth=3
	v_cmp_ne_u32_e32 vcc, v27, v12
	s_mov_b64 s[46:47], -1
	s_mov_b64 s[48:49], 0
	s_and_saveexec_b64 s[44:45], vcc
	s_cbranch_execz .LBB9_51
; %bb.55:                               ;   in Loop: Header=BB9_53 Depth=3
	v_add_u32_e32 v25, 1, v26
	v_and_b32_e32 v25, 0xff, v25
	v_lshl_add_u32 v27, v25, 2, v16
	ds_read_b32 v27, v27
	s_mov_b64 s[50:51], -1
	s_mov_b64 s[48:49], -1
	s_waitcnt lgkmcnt(0)
	v_cmp_ne_u32_e32 vcc, -1, v27
	s_and_saveexec_b64 s[46:47], vcc
	s_cbranch_execz .LBB9_50
; %bb.56:                               ;   in Loop: Header=BB9_53 Depth=3
	v_cmp_ne_u32_e32 vcc, v27, v12
	s_mov_b64 s[54:55], 0
	s_and_saveexec_b64 s[48:49], vcc
	s_cbranch_execz .LBB9_49
; %bb.57:                               ;   in Loop: Header=BB9_53 Depth=3
	v_add_u32_e32 v25, 2, v26
	v_and_b32_e32 v25, 0xff, v25
	v_lshl_add_u32 v27, v25, 2, v16
	ds_read_b32 v27, v27
	s_mov_b64 s[52:53], -1
	s_mov_b64 s[56:57], -1
	s_waitcnt lgkmcnt(0)
	v_cmp_ne_u32_e32 vcc, -1, v27
	s_and_saveexec_b64 s[50:51], vcc
	s_cbranch_execz .LBB9_48
; %bb.58:                               ;   in Loop: Header=BB9_53 Depth=3
	v_cmp_ne_u32_e32 vcc, v27, v12
	s_mov_b64 s[54:55], -1
	s_mov_b64 s[56:57], 0
	s_and_saveexec_b64 s[52:53], vcc
	s_cbranch_execz .LBB9_47
; %bb.59:                               ;   in Loop: Header=BB9_53 Depth=3
	v_add_u32_e32 v25, 3, v26
	v_and_b32_e32 v25, 0xff, v25
	v_lshl_add_u32 v26, v25, 2, v16
	ds_read_b32 v27, v26
	s_mov_b64 s[58:59], -1
	s_mov_b64 s[56:57], -1
                                        ; implicit-def: $vgpr26
	s_waitcnt lgkmcnt(0)
	v_cmp_ne_u32_e32 vcc, -1, v27
	s_and_saveexec_b64 s[54:55], vcc
	s_cbranch_execz .LBB9_46
; %bb.60:                               ;   in Loop: Header=BB9_53 Depth=3
	v_cmp_ne_u32_e32 vcc, v27, v12
	s_mov_b64 s[56:57], 0
                                        ; implicit-def: $vgpr26
	s_and_saveexec_b64 s[60:61], vcc
	s_cbranch_execz .LBB9_45
; %bb.61:                               ;   in Loop: Header=BB9_53 Depth=3
	v_add_u32_e32 v24, -4, v24
	v_cmp_eq_u32_e32 vcc, 0, v24
	s_mov_b64 s[56:57], exec
	v_add_u32_e32 v26, 1, v25
	s_orn2_b64 s[58:59], vcc, exec
	s_branch .LBB9_45
.LBB9_62:                               ;   in Loop: Header=BB9_44 Depth=2
	s_or_b64 exec, exec, s[36:37]
	s_xor_b64 s[30:31], s[30:31], -1
	s_and_saveexec_b64 s[36:37], s[30:31]
	s_xor_b64 s[30:31], exec, s[36:37]
	s_cbranch_execz .LBB9_43
; %bb.63:                               ;   in Loop: Header=BB9_44 Depth=2
	v_lshl_add_u32 v12, v25, 2, v0
	ds_read_b32 v24, v12
	v_add_co_u32_e32 v9, vcc, s12, v9
	v_addc_co_u32_e32 v10, vcc, v19, v10, vcc
	s_waitcnt lgkmcnt(0)
	v_ashrrev_i32_e32 v25, 31, v24
	v_lshlrev_b64 v[24:25], 2, v[24:25]
	v_add_co_u32_e32 v24, vcc, s12, v24
	v_addc_co_u32_e32 v25, vcc, v19, v25, vcc
	global_load_dword v12, v[9:10], off
	global_load_dword v26, v[24:25], off
	s_waitcnt vmcnt(0)
	v_fma_f32 v9, -v11, v12, v26
	global_store_dword v[24:25], v9, off
	s_branch .LBB9_43
.LBB9_64:
	s_or_b64 exec, exec, s[0:1]
	v_cmp_lt_i32_e32 vcc, -1, v6
	s_and_saveexec_b64 s[6:7], vcc
	s_cbranch_execz .LBB9_80
; %bb.65:
	v_mov_b32_e32 v7, 0
	v_lshlrev_b64 v[6:7], 2, v[6:7]
	v_mov_b32_e32 v0, s13
	v_add_co_u32_e32 v8, vcc, s12, v6
	v_addc_co_u32_e32 v9, vcc, v0, v7, vcc
	global_load_dword v0, v[8:9], off
	v_cmp_eq_u32_e64 s[0:1], 0, v13
	s_mov_b64 s[8:9], -1
	s_waitcnt vmcnt(0)
	v_cmp_gt_f32_e32 vcc, 0, v0
	v_cndmask_b32_e64 v6, v0, -v0, vcc
	v_cvt_f64_f32_e32 v[6:7], v6
	s_andn2_b64 vcc, exec, s[34:35]
	s_cbranch_vccnz .LBB9_69
; %bb.66:
	v_cvt_f64_f32_e32 v[10:11], v14
	s_cmp_eq_u64 s[24:25], 8
	s_cselect_b64 vcc, -1, 0
	v_cndmask_b32_e32 v4, v11, v4, vcc
	v_cndmask_b32_e32 v3, v10, v3, vcc
	v_cmp_ge_f64_e32 vcc, v[3:4], v[6:7]
	s_and_b64 s[10:11], s[0:1], vcc
	s_and_saveexec_b64 s[8:9], s[10:11]
	s_cbranch_execz .LBB9_68
; %bb.67:
	global_store_dword v[8:9], v15, off
	s_waitcnt vmcnt(0)
	buffer_wbinvl1_vol
.LBB9_68:
	s_or_b64 exec, exec, s[8:9]
	s_mov_b64 s[8:9], 0
.LBB9_69:
	s_andn2_b64 vcc, exec, s[8:9]
	s_cbranch_vccnz .LBB9_80
; %bb.70:
	s_load_dwordx2 s[4:5], s[4:5], 0x48
	v_add_u32_e32 v3, s2, v5
	s_waitcnt lgkmcnt(0)
	v_cmp_ge_f64_e32 vcc, s[4:5], v[6:7]
	s_and_b64 s[4:5], s[0:1], vcc
	s_and_saveexec_b64 s[2:3], s[4:5]
	s_cbranch_execz .LBB9_75
; %bb.71:
	s_mov_b64 s[4:5], exec
	s_brev_b32 s8, -2
.LBB9_72:                               ; =>This Inner Loop Header: Depth=1
	s_ff1_i32_b64 s9, s[4:5]
	v_readlane_b32 s12, v3, s9
	s_lshl_b64 s[10:11], 1, s9
	s_min_i32 s8, s8, s12
	s_andn2_b64 s[4:5], s[4:5], s[10:11]
	s_cmp_lg_u64 s[4:5], 0
	s_cbranch_scc1 .LBB9_72
; %bb.73:
	v_mbcnt_lo_u32_b32 v4, exec_lo, 0
	v_mbcnt_hi_u32_b32 v4, exec_hi, v4
	v_cmp_eq_u32_e32 vcc, 0, v4
	s_and_saveexec_b64 s[4:5], vcc
	s_xor_b64 s[4:5], exec, s[4:5]
	s_cbranch_execz .LBB9_75
; %bb.74:
	v_mov_b32_e32 v4, 0
	v_mov_b32_e32 v5, s8
	global_atomic_smin v4, v5, s[22:23]
.LBB9_75:
	s_or_b64 exec, exec, s[2:3]
	v_cmp_eq_f32_e32 vcc, 0, v0
	s_and_b64 s[0:1], s[0:1], vcc
	s_and_b64 exec, exec, s[0:1]
	s_cbranch_execz .LBB9_80
; %bb.76:
	s_mov_b64 s[0:1], exec
	s_brev_b32 s2, -2
.LBB9_77:                               ; =>This Inner Loop Header: Depth=1
	s_ff1_i32_b64 s3, s[0:1]
	v_readlane_b32 s8, v3, s3
	s_lshl_b64 s[4:5], 1, s3
	s_min_i32 s2, s2, s8
	s_andn2_b64 s[0:1], s[0:1], s[4:5]
	s_cmp_lg_u64 s[0:1], 0
	s_cbranch_scc1 .LBB9_77
; %bb.78:
	v_mbcnt_lo_u32_b32 v0, exec_lo, 0
	v_mbcnt_hi_u32_b32 v0, exec_hi, v0
	v_cmp_eq_u32_e32 vcc, 0, v0
	s_and_saveexec_b64 s[0:1], vcc
	s_xor_b64 s[0:1], exec, s[0:1]
	s_cbranch_execz .LBB9_80
; %bb.79:
	v_mov_b32_e32 v0, 0
	v_mov_b32_e32 v3, s2
	global_atomic_smin v0, v3, s[20:21]
.LBB9_80:
	s_or_b64 exec, exec, s[6:7]
	v_cmp_eq_u32_e32 vcc, 0, v13
	s_waitcnt vmcnt(0)
	buffer_wbinvl1_vol
	s_and_b64 exec, exec, vcc
	s_cbranch_execz .LBB9_82
; %bb.81:
	v_mov_b32_e32 v3, s17
	v_add_co_u32_e32 v0, vcc, s16, v1
	v_addc_co_u32_e32 v1, vcc, v3, v2, vcc
	v_mov_b32_e32 v2, 1
	global_store_dword v[0:1], v2, off
.LBB9_82:
	s_endpgm
	.section	.rodata,"a",@progbits
	.p2align	6, 0x0
	.amdhsa_kernel _ZN9rocsparseL12csrilu0_hashILj256ELj64ELj4EfEEviPKiS2_PT2_S2_PiS2_S5_S5_d21rocsparse_index_base_imNS_24const_host_device_scalarIfEENS7_IdEENS7_IS3_EEb
		.amdhsa_group_segment_fixed_size 8192
		.amdhsa_private_segment_fixed_size 0
		.amdhsa_kernarg_size 124
		.amdhsa_user_sgpr_count 6
		.amdhsa_user_sgpr_private_segment_buffer 1
		.amdhsa_user_sgpr_dispatch_ptr 0
		.amdhsa_user_sgpr_queue_ptr 0
		.amdhsa_user_sgpr_kernarg_segment_ptr 1
		.amdhsa_user_sgpr_dispatch_id 0
		.amdhsa_user_sgpr_flat_scratch_init 0
		.amdhsa_user_sgpr_private_segment_size 0
		.amdhsa_uses_dynamic_stack 0
		.amdhsa_system_sgpr_private_segment_wavefront_offset 0
		.amdhsa_system_sgpr_workgroup_id_x 1
		.amdhsa_system_sgpr_workgroup_id_y 0
		.amdhsa_system_sgpr_workgroup_id_z 0
		.amdhsa_system_sgpr_workgroup_info 0
		.amdhsa_system_vgpr_workitem_id 0
		.amdhsa_next_free_vgpr 30
		.amdhsa_next_free_sgpr 62
		.amdhsa_reserve_vcc 1
		.amdhsa_reserve_flat_scratch 0
		.amdhsa_float_round_mode_32 0
		.amdhsa_float_round_mode_16_64 0
		.amdhsa_float_denorm_mode_32 3
		.amdhsa_float_denorm_mode_16_64 3
		.amdhsa_dx10_clamp 1
		.amdhsa_ieee_mode 1
		.amdhsa_fp16_overflow 0
		.amdhsa_exception_fp_ieee_invalid_op 0
		.amdhsa_exception_fp_denorm_src 0
		.amdhsa_exception_fp_ieee_div_zero 0
		.amdhsa_exception_fp_ieee_overflow 0
		.amdhsa_exception_fp_ieee_underflow 0
		.amdhsa_exception_fp_ieee_inexact 0
		.amdhsa_exception_int_div_zero 0
	.end_amdhsa_kernel
	.section	.text._ZN9rocsparseL12csrilu0_hashILj256ELj64ELj4EfEEviPKiS2_PT2_S2_PiS2_S5_S5_d21rocsparse_index_base_imNS_24const_host_device_scalarIfEENS7_IdEENS7_IS3_EEb,"axG",@progbits,_ZN9rocsparseL12csrilu0_hashILj256ELj64ELj4EfEEviPKiS2_PT2_S2_PiS2_S5_S5_d21rocsparse_index_base_imNS_24const_host_device_scalarIfEENS7_IdEENS7_IS3_EEb,comdat
.Lfunc_end9:
	.size	_ZN9rocsparseL12csrilu0_hashILj256ELj64ELj4EfEEviPKiS2_PT2_S2_PiS2_S5_S5_d21rocsparse_index_base_imNS_24const_host_device_scalarIfEENS7_IdEENS7_IS3_EEb, .Lfunc_end9-_ZN9rocsparseL12csrilu0_hashILj256ELj64ELj4EfEEviPKiS2_PT2_S2_PiS2_S5_S5_d21rocsparse_index_base_imNS_24const_host_device_scalarIfEENS7_IdEENS7_IS3_EEb
                                        ; -- End function
	.set _ZN9rocsparseL12csrilu0_hashILj256ELj64ELj4EfEEviPKiS2_PT2_S2_PiS2_S5_S5_d21rocsparse_index_base_imNS_24const_host_device_scalarIfEENS7_IdEENS7_IS3_EEb.num_vgpr, 30
	.set _ZN9rocsparseL12csrilu0_hashILj256ELj64ELj4EfEEviPKiS2_PT2_S2_PiS2_S5_S5_d21rocsparse_index_base_imNS_24const_host_device_scalarIfEENS7_IdEENS7_IS3_EEb.num_agpr, 0
	.set _ZN9rocsparseL12csrilu0_hashILj256ELj64ELj4EfEEviPKiS2_PT2_S2_PiS2_S5_S5_d21rocsparse_index_base_imNS_24const_host_device_scalarIfEENS7_IdEENS7_IS3_EEb.numbered_sgpr, 62
	.set _ZN9rocsparseL12csrilu0_hashILj256ELj64ELj4EfEEviPKiS2_PT2_S2_PiS2_S5_S5_d21rocsparse_index_base_imNS_24const_host_device_scalarIfEENS7_IdEENS7_IS3_EEb.num_named_barrier, 0
	.set _ZN9rocsparseL12csrilu0_hashILj256ELj64ELj4EfEEviPKiS2_PT2_S2_PiS2_S5_S5_d21rocsparse_index_base_imNS_24const_host_device_scalarIfEENS7_IdEENS7_IS3_EEb.private_seg_size, 0
	.set _ZN9rocsparseL12csrilu0_hashILj256ELj64ELj4EfEEviPKiS2_PT2_S2_PiS2_S5_S5_d21rocsparse_index_base_imNS_24const_host_device_scalarIfEENS7_IdEENS7_IS3_EEb.uses_vcc, 1
	.set _ZN9rocsparseL12csrilu0_hashILj256ELj64ELj4EfEEviPKiS2_PT2_S2_PiS2_S5_S5_d21rocsparse_index_base_imNS_24const_host_device_scalarIfEENS7_IdEENS7_IS3_EEb.uses_flat_scratch, 0
	.set _ZN9rocsparseL12csrilu0_hashILj256ELj64ELj4EfEEviPKiS2_PT2_S2_PiS2_S5_S5_d21rocsparse_index_base_imNS_24const_host_device_scalarIfEENS7_IdEENS7_IS3_EEb.has_dyn_sized_stack, 0
	.set _ZN9rocsparseL12csrilu0_hashILj256ELj64ELj4EfEEviPKiS2_PT2_S2_PiS2_S5_S5_d21rocsparse_index_base_imNS_24const_host_device_scalarIfEENS7_IdEENS7_IS3_EEb.has_recursion, 0
	.set _ZN9rocsparseL12csrilu0_hashILj256ELj64ELj4EfEEviPKiS2_PT2_S2_PiS2_S5_S5_d21rocsparse_index_base_imNS_24const_host_device_scalarIfEENS7_IdEENS7_IS3_EEb.has_indirect_call, 0
	.section	.AMDGPU.csdata,"",@progbits
; Kernel info:
; codeLenInByte = 2556
; TotalNumSgprs: 66
; NumVgprs: 30
; ScratchSize: 0
; MemoryBound: 0
; FloatMode: 240
; IeeeMode: 1
; LDSByteSize: 8192 bytes/workgroup (compile time only)
; SGPRBlocks: 8
; VGPRBlocks: 7
; NumSGPRsForWavesPerEU: 66
; NumVGPRsForWavesPerEU: 30
; Occupancy: 8
; WaveLimiterHint : 1
; COMPUTE_PGM_RSRC2:SCRATCH_EN: 0
; COMPUTE_PGM_RSRC2:USER_SGPR: 6
; COMPUTE_PGM_RSRC2:TRAP_HANDLER: 0
; COMPUTE_PGM_RSRC2:TGID_X_EN: 1
; COMPUTE_PGM_RSRC2:TGID_Y_EN: 0
; COMPUTE_PGM_RSRC2:TGID_Z_EN: 0
; COMPUTE_PGM_RSRC2:TIDIG_COMP_CNT: 0
	.section	.text._ZN9rocsparseL12csrilu0_hashILj256ELj64ELj8EfEEviPKiS2_PT2_S2_PiS2_S5_S5_d21rocsparse_index_base_imNS_24const_host_device_scalarIfEENS7_IdEENS7_IS3_EEb,"axG",@progbits,_ZN9rocsparseL12csrilu0_hashILj256ELj64ELj8EfEEviPKiS2_PT2_S2_PiS2_S5_S5_d21rocsparse_index_base_imNS_24const_host_device_scalarIfEENS7_IdEENS7_IS3_EEb,comdat
	.globl	_ZN9rocsparseL12csrilu0_hashILj256ELj64ELj8EfEEviPKiS2_PT2_S2_PiS2_S5_S5_d21rocsparse_index_base_imNS_24const_host_device_scalarIfEENS7_IdEENS7_IS3_EEb ; -- Begin function _ZN9rocsparseL12csrilu0_hashILj256ELj64ELj8EfEEviPKiS2_PT2_S2_PiS2_S5_S5_d21rocsparse_index_base_imNS_24const_host_device_scalarIfEENS7_IdEENS7_IS3_EEb
	.p2align	8
	.type	_ZN9rocsparseL12csrilu0_hashILj256ELj64ELj8EfEEviPKiS2_PT2_S2_PiS2_S5_S5_d21rocsparse_index_base_imNS_24const_host_device_scalarIfEENS7_IdEENS7_IS3_EEb,@function
_ZN9rocsparseL12csrilu0_hashILj256ELj64ELj8EfEEviPKiS2_PT2_S2_PiS2_S5_S5_d21rocsparse_index_base_imNS_24const_host_device_scalarIfEENS7_IdEENS7_IS3_EEb: ; @_ZN9rocsparseL12csrilu0_hashILj256ELj64ELj8EfEEviPKiS2_PT2_S2_PiS2_S5_S5_d21rocsparse_index_base_imNS_24const_host_device_scalarIfEENS7_IdEENS7_IS3_EEb
; %bb.0:
	s_load_dword s0, s[4:5], 0x78
	s_load_dwordx2 s[2:3], s[4:5], 0x50
	s_load_dwordx8 s[24:31], s[4:5], 0x58
	s_waitcnt lgkmcnt(0)
	s_bitcmp1_b32 s0, 0
	s_cselect_b64 s[0:1], -1, 0
	s_cmp_eq_u32 s3, 0
	s_cselect_b64 s[8:9], -1, 0
	s_cmp_lg_u32 s3, 0
	s_cselect_b64 s[34:35], -1, 0
	s_or_b64 s[0:1], s[8:9], s[0:1]
	s_xor_b64 s[10:11], s[0:1], -1
	s_and_b64 s[12:13], s[8:9], exec
	s_cselect_b32 s13, 0, s29
	s_cselect_b32 s12, 0, s28
	s_and_b64 vcc, exec, s[0:1]
	s_cbranch_vccnz .LBB10_2
; %bb.1:
	s_load_dword s0, s[26:27], 0x0
	s_mov_b64 s[12:13], s[28:29]
	s_waitcnt lgkmcnt(0)
	v_mov_b32_e32 v14, s0
	s_branch .LBB10_3
.LBB10_2:
	v_mov_b32_e32 v1, s26
	v_cndmask_b32_e64 v14, v1, 0, s[8:9]
.LBB10_3:
	v_cndmask_b32_e64 v1, 0, 1, s[10:11]
	v_mov_b32_e32 v3, s12
	v_cmp_ne_u32_e64 s[0:1], 1, v1
	s_andn2_b64 vcc, exec, s[10:11]
	v_mov_b32_e32 v4, s13
	s_cbranch_vccnz .LBB10_5
; %bb.4:
	v_mov_b32_e32 v1, s28
	v_mov_b32_e32 v2, s29
	flat_load_dwordx2 v[3:4], v[1:2]
.LBB10_5:
	s_and_b64 vcc, exec, s[0:1]
	s_cbranch_vccnz .LBB10_7
; %bb.6:
	s_load_dword s0, s[30:31], 0x0
	s_waitcnt lgkmcnt(0)
	v_mov_b32_e32 v15, s0
	s_branch .LBB10_8
.LBB10_7:
	v_mov_b32_e32 v1, s30
	v_cndmask_b32_e64 v15, v1, 0, s[8:9]
.LBB10_8:
	v_and_b32_e32 v13, 63, v0
	v_lshrrev_b32_e32 v1, 6, v0
	v_lshlrev_b32_e32 v5, 11, v1
	v_lshlrev_b32_e32 v6, 2, v13
	s_movk_i32 s0, 0x2000
	v_or_b32_e32 v2, 0xffffffc0, v13
	v_or3_b32 v5, v5, v6, s0
	s_mov_b64 s[0:1], 0
	v_mov_b32_e32 v6, -1
	s_movk_i32 s3, 0x1bf
.LBB10_9:                               ; =>This Inner Loop Header: Depth=1
	v_add_u32_e32 v2, 64, v2
	v_cmp_lt_u32_e32 vcc, s3, v2
	ds_write_b32 v5, v6
	s_or_b64 s[0:1], vcc, s[0:1]
	v_add_u32_e32 v5, 0x100, v5
	s_andn2_b64 exec, exec, s[0:1]
	s_cbranch_execnz .LBB10_9
; %bb.10:
	s_or_b64 exec, exec, s[0:1]
	s_load_dword s0, s[4:5], 0x0
	s_lshl_b32 s1, s6, 2
	s_and_b32 s1, s1, 0x3fffffc
	v_or_b32_e32 v1, s1, v1
	s_waitcnt lgkmcnt(0)
	v_cmp_gt_i32_e32 vcc, s0, v1
	s_and_saveexec_b64 s[0:1], vcc
	s_cbranch_execz .LBB10_82
; %bb.11:
	s_load_dwordx16 s[8:23], s[4:5], 0x8
	v_lshlrev_b32_e32 v1, 2, v1
	v_lshlrev_b32_e32 v0, 5, v0
	v_and_b32_e32 v0, 0x1800, v0
	v_or_b32_e32 v16, 0x2000, v0
	s_waitcnt lgkmcnt(0)
	global_load_dword v5, v1, s[18:19]
	v_mov_b32_e32 v7, s9
	v_mov_b32_e32 v10, s15
	s_waitcnt vmcnt(0)
	v_ashrrev_i32_e32 v6, 31, v5
	v_lshlrev_b64 v[1:2], 2, v[5:6]
	v_add_co_u32_e32 v6, vcc, s8, v1
	v_addc_co_u32_e32 v7, vcc, v7, v2, vcc
	global_load_dwordx2 v[7:8], v[6:7], off
	v_add_co_u32_e32 v9, vcc, s14, v1
	v_addc_co_u32_e32 v10, vcc, v10, v2, vcc
	global_load_dword v6, v[9:10], off
	s_waitcnt vmcnt(1)
	v_subrev_u32_e32 v7, s2, v7
	v_subrev_u32_e32 v10, s2, v8
	v_add_u32_e32 v8, v7, v13
	v_cmp_lt_i32_e32 vcc, v8, v10
	s_and_saveexec_b64 s[0:1], vcc
	s_cbranch_execz .LBB10_34
; %bb.12:
	s_mov_b64 s[6:7], 0
	v_mov_b32_e32 v11, s11
	s_movk_i32 s3, 0x67
	v_mov_b32_e32 v12, -1
	s_branch .LBB10_14
.LBB10_13:                              ;   in Loop: Header=BB10_14 Depth=1
	s_or_b64 exec, exec, s[18:19]
	v_add_u32_e32 v8, 64, v8
	v_cmp_ge_i32_e32 vcc, v8, v10
	s_or_b64 s[6:7], vcc, s[6:7]
	s_andn2_b64 exec, exec, s[6:7]
	s_cbranch_execz .LBB10_34
.LBB10_14:                              ; =>This Loop Header: Depth=1
                                        ;     Child Loop BB10_23 Depth 2
	v_ashrrev_i32_e32 v9, 31, v8
	v_lshlrev_b64 v[17:18], 2, v[8:9]
	s_mov_b64 s[26:27], 0
	v_add_co_u32_e32 v17, vcc, s10, v17
	v_addc_co_u32_e32 v18, vcc, v11, v18, vcc
	global_load_dword v9, v[17:18], off
	v_mov_b32_e32 v17, 0x200
                                        ; implicit-def: $sgpr18_sgpr19
                                        ; implicit-def: $sgpr28_sgpr29
                                        ; implicit-def: $sgpr30_sgpr31
	s_waitcnt vmcnt(0)
	v_mul_lo_u32 v19, v9, s3
	s_branch .LBB10_23
.LBB10_15:                              ;   in Loop: Header=BB10_23 Depth=2
	s_or_b64 exec, exec, s[54:55]
	s_orn2_b64 s[50:51], s[50:51], exec
	s_orn2_b64 s[52:53], s[52:53], exec
.LBB10_16:                              ;   in Loop: Header=BB10_23 Depth=2
	s_or_b64 exec, exec, s[48:49]
	s_and_b64 s[50:51], s[50:51], exec
	s_orn2_b64 s[48:49], s[52:53], exec
.LBB10_17:                              ;   in Loop: Header=BB10_23 Depth=2
	s_or_b64 exec, exec, s[46:47]
	s_orn2_b64 s[50:51], s[50:51], exec
	s_orn2_b64 s[46:47], s[48:49], exec
.LBB10_18:                              ;   in Loop: Header=BB10_23 Depth=2
	s_or_b64 exec, exec, s[44:45]
	s_and_b64 s[48:49], s[50:51], exec
	s_orn2_b64 s[44:45], s[46:47], exec
.LBB10_19:                              ;   in Loop: Header=BB10_23 Depth=2
	s_or_b64 exec, exec, s[42:43]
	s_orn2_b64 s[42:43], s[48:49], exec
	s_orn2_b64 s[44:45], s[44:45], exec
.LBB10_20:                              ;   in Loop: Header=BB10_23 Depth=2
	s_or_b64 exec, exec, s[40:41]
	s_and_b64 s[42:43], s[42:43], exec
	s_orn2_b64 s[40:41], s[44:45], exec
.LBB10_21:                              ;   in Loop: Header=BB10_23 Depth=2
	s_or_b64 exec, exec, s[38:39]
	s_andn2_b64 s[30:31], s[30:31], exec
	s_and_b64 s[38:39], s[42:43], exec
	s_or_b64 s[30:31], s[30:31], s[38:39]
	s_andn2_b64 s[28:29], s[28:29], exec
	s_and_b64 s[38:39], s[40:41], exec
	s_or_b64 s[28:29], s[28:29], s[38:39]
.LBB10_22:                              ;   in Loop: Header=BB10_23 Depth=2
	s_or_b64 exec, exec, s[36:37]
	s_and_b64 s[36:37], exec, s[28:29]
	s_or_b64 s[26:27], s[36:37], s[26:27]
	s_andn2_b64 s[18:19], s[18:19], exec
	s_and_b64 s[36:37], s[30:31], exec
	s_or_b64 s[18:19], s[18:19], s[36:37]
	s_andn2_b64 exec, exec, s[26:27]
	s_cbranch_execz .LBB10_32
.LBB10_23:                              ;   Parent Loop BB10_14 Depth=1
                                        ; =>  This Inner Loop Header: Depth=2
	v_and_b32_e32 v18, 0x1ff, v19
	v_lshl_add_u32 v20, v18, 2, v16
	ds_read_b32 v21, v20
	s_or_b64 s[30:31], s[30:31], exec
	s_or_b64 s[28:29], s[28:29], exec
	s_waitcnt lgkmcnt(0)
	v_cmp_ne_u32_e32 vcc, v21, v9
	s_and_saveexec_b64 s[36:37], vcc
	s_cbranch_execz .LBB10_22
; %bb.24:                               ;   in Loop: Header=BB10_23 Depth=2
	ds_cmpst_rtn_b32 v20, v20, v12, v9
	s_mov_b64 s[40:41], -1
	s_mov_b64 s[42:43], 0
	s_waitcnt lgkmcnt(0)
	v_cmp_ne_u32_e32 vcc, -1, v20
	s_and_saveexec_b64 s[38:39], vcc
	s_cbranch_execz .LBB10_21
; %bb.25:                               ;   in Loop: Header=BB10_23 Depth=2
	v_add_u32_e32 v18, 1, v19
	v_and_b32_e32 v18, 0x1ff, v18
	v_lshl_add_u32 v20, v18, 2, v16
	ds_read_b32 v21, v20
	s_mov_b64 s[44:45], -1
	s_mov_b64 s[42:43], -1
	s_waitcnt lgkmcnt(0)
	v_cmp_ne_u32_e32 vcc, v21, v9
	s_and_saveexec_b64 s[40:41], vcc
	s_cbranch_execz .LBB10_20
; %bb.26:                               ;   in Loop: Header=BB10_23 Depth=2
	ds_cmpst_rtn_b32 v20, v20, v12, v9
	s_mov_b64 s[48:49], 0
	s_waitcnt lgkmcnt(0)
	v_cmp_ne_u32_e32 vcc, -1, v20
	s_and_saveexec_b64 s[42:43], vcc
	s_cbranch_execz .LBB10_19
; %bb.27:                               ;   in Loop: Header=BB10_23 Depth=2
	v_add_u32_e32 v18, 2, v19
	v_and_b32_e32 v18, 0x1ff, v18
	v_lshl_add_u32 v20, v18, 2, v16
	ds_read_b32 v21, v20
	s_mov_b64 s[46:47], -1
	s_mov_b64 s[50:51], -1
	s_waitcnt lgkmcnt(0)
	v_cmp_ne_u32_e32 vcc, v21, v9
	s_and_saveexec_b64 s[44:45], vcc
	s_cbranch_execz .LBB10_18
; %bb.28:                               ;   in Loop: Header=BB10_23 Depth=2
	ds_cmpst_rtn_b32 v20, v20, v12, v9
	s_mov_b64 s[48:49], -1
	s_mov_b64 s[50:51], 0
	s_waitcnt lgkmcnt(0)
	v_cmp_ne_u32_e32 vcc, -1, v20
	s_and_saveexec_b64 s[46:47], vcc
	s_cbranch_execz .LBB10_17
; %bb.29:                               ;   in Loop: Header=BB10_23 Depth=2
	v_add_u32_e32 v18, 3, v19
	v_and_b32_e32 v18, 0x1ff, v18
	v_lshl_add_u32 v20, v18, 2, v16
	ds_read_b32 v19, v20
	s_mov_b64 s[52:53], -1
	s_mov_b64 s[50:51], -1
	s_waitcnt lgkmcnt(0)
	v_cmp_ne_u32_e32 vcc, v19, v9
                                        ; implicit-def: $vgpr19
	s_and_saveexec_b64 s[48:49], vcc
	s_cbranch_execz .LBB10_16
; %bb.30:                               ;   in Loop: Header=BB10_23 Depth=2
	ds_cmpst_rtn_b32 v19, v20, v12, v9
	s_mov_b64 s[50:51], 0
	s_waitcnt lgkmcnt(0)
	v_cmp_ne_u32_e32 vcc, -1, v19
                                        ; implicit-def: $vgpr19
	s_and_saveexec_b64 s[54:55], vcc
	s_cbranch_execz .LBB10_15
; %bb.31:                               ;   in Loop: Header=BB10_23 Depth=2
	v_add_u32_e32 v17, -4, v17
	v_cmp_eq_u32_e32 vcc, 0, v17
	s_mov_b64 s[50:51], exec
	v_add_u32_e32 v19, 1, v18
	s_orn2_b64 s[52:53], vcc, exec
	s_branch .LBB10_15
.LBB10_32:                              ;   in Loop: Header=BB10_14 Depth=1
	s_or_b64 exec, exec, s[26:27]
	s_xor_b64 s[18:19], s[18:19], -1
	s_and_saveexec_b64 s[26:27], s[18:19]
	s_xor_b64 s[18:19], exec, s[26:27]
	s_cbranch_execz .LBB10_13
; %bb.33:                               ;   in Loop: Header=BB10_14 Depth=1
	v_lshl_add_u32 v9, v18, 2, v0
	ds_write_b32 v9, v8
	s_branch .LBB10_13
.LBB10_34:
	s_or_b64 exec, exec, s[0:1]
	s_waitcnt vmcnt(0)
	v_cmp_lt_i32_e32 vcc, v7, v6
	s_waitcnt lgkmcnt(0)
	s_and_saveexec_b64 s[0:1], vcc
	s_cbranch_execz .LBB10_64
; %bb.35:
	v_add_u32_e32 v17, 1, v13
	s_mov_b64 s[6:7], 0
	v_mov_b32_e32 v18, s11
	v_mov_b32_e32 v19, s13
	;; [unrolled: 1-line block ×5, first 2 shown]
	s_movk_i32 s3, 0x67
	s_branch .LBB10_38
.LBB10_36:                              ;   in Loop: Header=BB10_38 Depth=1
	s_or_b64 exec, exec, s[26:27]
	v_add_u32_e32 v7, 1, v7
	v_cmp_ge_i32_e32 vcc, v7, v6
	s_orn2_b64 s[26:27], vcc, exec
.LBB10_37:                              ;   in Loop: Header=BB10_38 Depth=1
	s_or_b64 exec, exec, s[18:19]
	s_and_b64 s[18:19], exec, s[26:27]
	s_or_b64 s[6:7], s[18:19], s[6:7]
	s_andn2_b64 exec, exec, s[6:7]
	s_cbranch_execz .LBB10_64
.LBB10_38:                              ; =>This Loop Header: Depth=1
                                        ;     Child Loop BB10_39 Depth 2
                                        ;     Child Loop BB10_44 Depth 2
                                        ;       Child Loop BB10_53 Depth 3
	v_ashrrev_i32_e32 v8, 31, v7
	v_lshlrev_b64 v[9:10], 2, v[7:8]
	s_mov_b64 s[18:19], 0
	v_add_co_u32_e32 v11, vcc, s10, v9
	v_addc_co_u32_e32 v12, vcc, v18, v10, vcc
	global_load_dword v8, v[11:12], off
	v_add_co_u32_e32 v9, vcc, s12, v9
	v_addc_co_u32_e32 v10, vcc, v19, v10, vcc
	global_load_dword v24, v[9:10], off
	s_waitcnt vmcnt(1)
	v_subrev_u32_e32 v11, s2, v8
	v_ashrrev_i32_e32 v12, 31, v11
	v_lshlrev_b64 v[11:12], 2, v[11:12]
	v_add_co_u32_e32 v26, vcc, s8, v11
	v_addc_co_u32_e32 v27, vcc, v20, v12, vcc
	v_add_co_u32_e32 v28, vcc, s14, v11
	v_addc_co_u32_e32 v29, vcc, v21, v12, vcc
	global_load_dword v8, v[26:27], off offset:4
	global_load_dword v25, v[28:29], off
	v_add_co_u32_e32 v11, vcc, s16, v11
	v_addc_co_u32_e32 v12, vcc, v22, v12, vcc
.LBB10_39:                              ;   Parent Loop BB10_38 Depth=1
                                        ; =>  This Inner Loop Header: Depth=2
	global_load_dword v23, v[11:12], off glc
	s_waitcnt vmcnt(0)
	v_cmp_ne_u32_e32 vcc, 0, v23
	s_or_b64 s[18:19], vcc, s[18:19]
	s_andn2_b64 exec, exec, s[18:19]
	s_cbranch_execnz .LBB10_39
; %bb.40:                               ;   in Loop: Header=BB10_38 Depth=1
	s_or_b64 exec, exec, s[18:19]
	v_subrev_u32_e32 v23, s2, v8
	v_add_u32_e32 v8, -1, v23
	v_cmp_eq_u32_e32 vcc, -1, v25
	v_cndmask_b32_e32 v11, v25, v8, vcc
	v_ashrrev_i32_e32 v12, 31, v11
	v_lshlrev_b64 v[25:26], 2, v[11:12]
	buffer_wbinvl1_vol
	v_add_co_u32_e32 v25, vcc, s12, v25
	v_addc_co_u32_e32 v26, vcc, v19, v26, vcc
	global_load_dword v12, v[25:26], off
	s_mov_b64 s[26:27], -1
	s_waitcnt vmcnt(0)
	v_cmp_neq_f32_e32 vcc, 0, v12
	s_and_saveexec_b64 s[18:19], vcc
	s_cbranch_execz .LBB10_37
; %bb.41:                               ;   in Loop: Header=BB10_38 Depth=1
	v_div_scale_f32 v8, s[26:27], v12, v12, v24
	v_div_scale_f32 v25, vcc, v24, v12, v24
	v_rcp_f32_e32 v26, v8
	v_fma_f32 v27, -v8, v26, 1.0
	v_fmac_f32_e32 v26, v27, v26
	v_mul_f32_e32 v27, v25, v26
	v_fma_f32 v28, -v8, v27, v25
	v_fmac_f32_e32 v27, v28, v26
	v_fma_f32 v8, -v8, v27, v25
	v_div_fmas_f32 v25, v8, v26, v27
	v_add_u32_e32 v8, v17, v11
	v_cmp_lt_i32_e32 vcc, v8, v23
	v_div_fixup_f32 v11, v25, v12, v24
	global_store_dword v[9:10], v11, off
	s_and_saveexec_b64 s[26:27], vcc
	s_cbranch_execz .LBB10_36
; %bb.42:                               ;   in Loop: Header=BB10_38 Depth=1
	s_mov_b64 s[28:29], 0
	s_branch .LBB10_44
.LBB10_43:                              ;   in Loop: Header=BB10_44 Depth=2
	s_or_b64 exec, exec, s[30:31]
	v_add_u32_e32 v8, 64, v8
	v_cmp_ge_i32_e32 vcc, v8, v23
	s_or_b64 s[28:29], vcc, s[28:29]
	s_andn2_b64 exec, exec, s[28:29]
	s_cbranch_execz .LBB10_36
.LBB10_44:                              ;   Parent Loop BB10_38 Depth=1
                                        ; =>  This Loop Header: Depth=2
                                        ;       Child Loop BB10_53 Depth 3
	v_ashrrev_i32_e32 v9, 31, v8
	v_lshlrev_b64 v[9:10], 2, v[8:9]
	s_mov_b64 s[36:37], 0
	v_add_co_u32_e32 v24, vcc, s10, v9
	v_addc_co_u32_e32 v25, vcc, v18, v10, vcc
	global_load_dword v12, v[24:25], off
	v_mov_b32_e32 v24, 0x200
                                        ; implicit-def: $sgpr30_sgpr31
                                        ; implicit-def: $sgpr38_sgpr39
                                        ; implicit-def: $sgpr40_sgpr41
	s_waitcnt vmcnt(0)
	v_mul_lo_u32 v26, v12, s3
	s_branch .LBB10_53
.LBB10_45:                              ;   in Loop: Header=BB10_53 Depth=3
	s_or_b64 exec, exec, s[60:61]
	s_orn2_b64 s[56:57], s[56:57], exec
	s_orn2_b64 s[58:59], s[58:59], exec
.LBB10_46:                              ;   in Loop: Header=BB10_53 Depth=3
	s_or_b64 exec, exec, s[54:55]
	s_and_b64 s[56:57], s[56:57], exec
	s_orn2_b64 s[54:55], s[58:59], exec
.LBB10_47:                              ;   in Loop: Header=BB10_53 Depth=3
	s_or_b64 exec, exec, s[52:53]
	s_orn2_b64 s[56:57], s[56:57], exec
	s_orn2_b64 s[52:53], s[54:55], exec
.LBB10_48:                              ;   in Loop: Header=BB10_53 Depth=3
	s_or_b64 exec, exec, s[50:51]
	s_and_b64 s[54:55], s[56:57], exec
	s_orn2_b64 s[50:51], s[52:53], exec
.LBB10_49:                              ;   in Loop: Header=BB10_53 Depth=3
	s_or_b64 exec, exec, s[48:49]
	s_orn2_b64 s[48:49], s[54:55], exec
	s_orn2_b64 s[50:51], s[50:51], exec
.LBB10_50:                              ;   in Loop: Header=BB10_53 Depth=3
	s_or_b64 exec, exec, s[46:47]
	s_and_b64 s[48:49], s[48:49], exec
	s_orn2_b64 s[46:47], s[50:51], exec
.LBB10_51:                              ;   in Loop: Header=BB10_53 Depth=3
	s_or_b64 exec, exec, s[44:45]
	s_andn2_b64 s[40:41], s[40:41], exec
	s_and_b64 s[44:45], s[48:49], exec
	s_or_b64 s[40:41], s[40:41], s[44:45]
	s_andn2_b64 s[38:39], s[38:39], exec
	s_and_b64 s[44:45], s[46:47], exec
	s_or_b64 s[38:39], s[38:39], s[44:45]
.LBB10_52:                              ;   in Loop: Header=BB10_53 Depth=3
	s_or_b64 exec, exec, s[42:43]
	s_and_b64 s[42:43], exec, s[38:39]
	s_or_b64 s[36:37], s[42:43], s[36:37]
	s_andn2_b64 s[30:31], s[30:31], exec
	s_and_b64 s[42:43], s[40:41], exec
	s_or_b64 s[30:31], s[30:31], s[42:43]
	s_andn2_b64 exec, exec, s[36:37]
	s_cbranch_execz .LBB10_62
.LBB10_53:                              ;   Parent Loop BB10_38 Depth=1
                                        ;     Parent Loop BB10_44 Depth=2
                                        ; =>    This Inner Loop Header: Depth=3
	v_and_b32_e32 v25, 0x1ff, v26
	v_lshl_add_u32 v27, v25, 2, v16
	ds_read_b32 v27, v27
	s_or_b64 s[40:41], s[40:41], exec
	s_or_b64 s[38:39], s[38:39], exec
	s_waitcnt lgkmcnt(0)
	v_cmp_ne_u32_e32 vcc, -1, v27
	s_and_saveexec_b64 s[42:43], vcc
	s_cbranch_execz .LBB10_52
; %bb.54:                               ;   in Loop: Header=BB10_53 Depth=3
	v_cmp_ne_u32_e32 vcc, v27, v12
	s_mov_b64 s[46:47], -1
	s_mov_b64 s[48:49], 0
	s_and_saveexec_b64 s[44:45], vcc
	s_cbranch_execz .LBB10_51
; %bb.55:                               ;   in Loop: Header=BB10_53 Depth=3
	v_add_u32_e32 v25, 1, v26
	v_and_b32_e32 v25, 0x1ff, v25
	v_lshl_add_u32 v27, v25, 2, v16
	ds_read_b32 v27, v27
	s_mov_b64 s[50:51], -1
	s_mov_b64 s[48:49], -1
	s_waitcnt lgkmcnt(0)
	v_cmp_ne_u32_e32 vcc, -1, v27
	s_and_saveexec_b64 s[46:47], vcc
	s_cbranch_execz .LBB10_50
; %bb.56:                               ;   in Loop: Header=BB10_53 Depth=3
	v_cmp_ne_u32_e32 vcc, v27, v12
	s_mov_b64 s[54:55], 0
	s_and_saveexec_b64 s[48:49], vcc
	s_cbranch_execz .LBB10_49
; %bb.57:                               ;   in Loop: Header=BB10_53 Depth=3
	v_add_u32_e32 v25, 2, v26
	v_and_b32_e32 v25, 0x1ff, v25
	v_lshl_add_u32 v27, v25, 2, v16
	ds_read_b32 v27, v27
	s_mov_b64 s[52:53], -1
	s_mov_b64 s[56:57], -1
	s_waitcnt lgkmcnt(0)
	v_cmp_ne_u32_e32 vcc, -1, v27
	s_and_saveexec_b64 s[50:51], vcc
	s_cbranch_execz .LBB10_48
; %bb.58:                               ;   in Loop: Header=BB10_53 Depth=3
	v_cmp_ne_u32_e32 vcc, v27, v12
	s_mov_b64 s[54:55], -1
	s_mov_b64 s[56:57], 0
	s_and_saveexec_b64 s[52:53], vcc
	s_cbranch_execz .LBB10_47
; %bb.59:                               ;   in Loop: Header=BB10_53 Depth=3
	v_add_u32_e32 v25, 3, v26
	v_and_b32_e32 v25, 0x1ff, v25
	v_lshl_add_u32 v26, v25, 2, v16
	ds_read_b32 v27, v26
	s_mov_b64 s[58:59], -1
	s_mov_b64 s[56:57], -1
                                        ; implicit-def: $vgpr26
	s_waitcnt lgkmcnt(0)
	v_cmp_ne_u32_e32 vcc, -1, v27
	s_and_saveexec_b64 s[54:55], vcc
	s_cbranch_execz .LBB10_46
; %bb.60:                               ;   in Loop: Header=BB10_53 Depth=3
	v_cmp_ne_u32_e32 vcc, v27, v12
	s_mov_b64 s[56:57], 0
                                        ; implicit-def: $vgpr26
	s_and_saveexec_b64 s[60:61], vcc
	s_cbranch_execz .LBB10_45
; %bb.61:                               ;   in Loop: Header=BB10_53 Depth=3
	v_add_u32_e32 v24, -4, v24
	v_cmp_eq_u32_e32 vcc, 0, v24
	s_mov_b64 s[56:57], exec
	v_add_u32_e32 v26, 1, v25
	s_orn2_b64 s[58:59], vcc, exec
	s_branch .LBB10_45
.LBB10_62:                              ;   in Loop: Header=BB10_44 Depth=2
	s_or_b64 exec, exec, s[36:37]
	s_xor_b64 s[30:31], s[30:31], -1
	s_and_saveexec_b64 s[36:37], s[30:31]
	s_xor_b64 s[30:31], exec, s[36:37]
	s_cbranch_execz .LBB10_43
; %bb.63:                               ;   in Loop: Header=BB10_44 Depth=2
	v_lshl_add_u32 v12, v25, 2, v0
	ds_read_b32 v24, v12
	v_add_co_u32_e32 v9, vcc, s12, v9
	v_addc_co_u32_e32 v10, vcc, v19, v10, vcc
	s_waitcnt lgkmcnt(0)
	v_ashrrev_i32_e32 v25, 31, v24
	v_lshlrev_b64 v[24:25], 2, v[24:25]
	v_add_co_u32_e32 v24, vcc, s12, v24
	v_addc_co_u32_e32 v25, vcc, v19, v25, vcc
	global_load_dword v12, v[9:10], off
	global_load_dword v26, v[24:25], off
	s_waitcnt vmcnt(0)
	v_fma_f32 v9, -v11, v12, v26
	global_store_dword v[24:25], v9, off
	s_branch .LBB10_43
.LBB10_64:
	s_or_b64 exec, exec, s[0:1]
	v_cmp_lt_i32_e32 vcc, -1, v6
	s_and_saveexec_b64 s[6:7], vcc
	s_cbranch_execz .LBB10_80
; %bb.65:
	v_mov_b32_e32 v7, 0
	v_lshlrev_b64 v[6:7], 2, v[6:7]
	v_mov_b32_e32 v0, s13
	v_add_co_u32_e32 v8, vcc, s12, v6
	v_addc_co_u32_e32 v9, vcc, v0, v7, vcc
	global_load_dword v0, v[8:9], off
	v_cmp_eq_u32_e64 s[0:1], 0, v13
	s_mov_b64 s[8:9], -1
	s_waitcnt vmcnt(0)
	v_cmp_gt_f32_e32 vcc, 0, v0
	v_cndmask_b32_e64 v6, v0, -v0, vcc
	v_cvt_f64_f32_e32 v[6:7], v6
	s_andn2_b64 vcc, exec, s[34:35]
	s_cbranch_vccnz .LBB10_69
; %bb.66:
	v_cvt_f64_f32_e32 v[10:11], v14
	s_cmp_eq_u64 s[24:25], 8
	s_cselect_b64 vcc, -1, 0
	v_cndmask_b32_e32 v4, v11, v4, vcc
	v_cndmask_b32_e32 v3, v10, v3, vcc
	v_cmp_ge_f64_e32 vcc, v[3:4], v[6:7]
	s_and_b64 s[10:11], s[0:1], vcc
	s_and_saveexec_b64 s[8:9], s[10:11]
	s_cbranch_execz .LBB10_68
; %bb.67:
	global_store_dword v[8:9], v15, off
	s_waitcnt vmcnt(0)
	buffer_wbinvl1_vol
.LBB10_68:
	s_or_b64 exec, exec, s[8:9]
	s_mov_b64 s[8:9], 0
.LBB10_69:
	s_andn2_b64 vcc, exec, s[8:9]
	s_cbranch_vccnz .LBB10_80
; %bb.70:
	s_load_dwordx2 s[4:5], s[4:5], 0x48
	v_add_u32_e32 v3, s2, v5
	s_waitcnt lgkmcnt(0)
	v_cmp_ge_f64_e32 vcc, s[4:5], v[6:7]
	s_and_b64 s[4:5], s[0:1], vcc
	s_and_saveexec_b64 s[2:3], s[4:5]
	s_cbranch_execz .LBB10_75
; %bb.71:
	s_mov_b64 s[4:5], exec
	s_brev_b32 s8, -2
.LBB10_72:                              ; =>This Inner Loop Header: Depth=1
	s_ff1_i32_b64 s9, s[4:5]
	v_readlane_b32 s12, v3, s9
	s_lshl_b64 s[10:11], 1, s9
	s_min_i32 s8, s8, s12
	s_andn2_b64 s[4:5], s[4:5], s[10:11]
	s_cmp_lg_u64 s[4:5], 0
	s_cbranch_scc1 .LBB10_72
; %bb.73:
	v_mbcnt_lo_u32_b32 v4, exec_lo, 0
	v_mbcnt_hi_u32_b32 v4, exec_hi, v4
	v_cmp_eq_u32_e32 vcc, 0, v4
	s_and_saveexec_b64 s[4:5], vcc
	s_xor_b64 s[4:5], exec, s[4:5]
	s_cbranch_execz .LBB10_75
; %bb.74:
	v_mov_b32_e32 v4, 0
	v_mov_b32_e32 v5, s8
	global_atomic_smin v4, v5, s[22:23]
.LBB10_75:
	s_or_b64 exec, exec, s[2:3]
	v_cmp_eq_f32_e32 vcc, 0, v0
	s_and_b64 s[0:1], s[0:1], vcc
	s_and_b64 exec, exec, s[0:1]
	s_cbranch_execz .LBB10_80
; %bb.76:
	s_mov_b64 s[0:1], exec
	s_brev_b32 s2, -2
.LBB10_77:                              ; =>This Inner Loop Header: Depth=1
	s_ff1_i32_b64 s3, s[0:1]
	v_readlane_b32 s8, v3, s3
	s_lshl_b64 s[4:5], 1, s3
	s_min_i32 s2, s2, s8
	s_andn2_b64 s[0:1], s[0:1], s[4:5]
	s_cmp_lg_u64 s[0:1], 0
	s_cbranch_scc1 .LBB10_77
; %bb.78:
	v_mbcnt_lo_u32_b32 v0, exec_lo, 0
	v_mbcnt_hi_u32_b32 v0, exec_hi, v0
	v_cmp_eq_u32_e32 vcc, 0, v0
	s_and_saveexec_b64 s[0:1], vcc
	s_xor_b64 s[0:1], exec, s[0:1]
	s_cbranch_execz .LBB10_80
; %bb.79:
	v_mov_b32_e32 v0, 0
	v_mov_b32_e32 v3, s2
	global_atomic_smin v0, v3, s[20:21]
.LBB10_80:
	s_or_b64 exec, exec, s[6:7]
	v_cmp_eq_u32_e32 vcc, 0, v13
	s_waitcnt vmcnt(0)
	buffer_wbinvl1_vol
	s_and_b64 exec, exec, vcc
	s_cbranch_execz .LBB10_82
; %bb.81:
	v_mov_b32_e32 v3, s17
	v_add_co_u32_e32 v0, vcc, s16, v1
	v_addc_co_u32_e32 v1, vcc, v3, v2, vcc
	v_mov_b32_e32 v2, 1
	global_store_dword v[0:1], v2, off
.LBB10_82:
	s_endpgm
	.section	.rodata,"a",@progbits
	.p2align	6, 0x0
	.amdhsa_kernel _ZN9rocsparseL12csrilu0_hashILj256ELj64ELj8EfEEviPKiS2_PT2_S2_PiS2_S5_S5_d21rocsparse_index_base_imNS_24const_host_device_scalarIfEENS7_IdEENS7_IS3_EEb
		.amdhsa_group_segment_fixed_size 16384
		.amdhsa_private_segment_fixed_size 0
		.amdhsa_kernarg_size 124
		.amdhsa_user_sgpr_count 6
		.amdhsa_user_sgpr_private_segment_buffer 1
		.amdhsa_user_sgpr_dispatch_ptr 0
		.amdhsa_user_sgpr_queue_ptr 0
		.amdhsa_user_sgpr_kernarg_segment_ptr 1
		.amdhsa_user_sgpr_dispatch_id 0
		.amdhsa_user_sgpr_flat_scratch_init 0
		.amdhsa_user_sgpr_private_segment_size 0
		.amdhsa_uses_dynamic_stack 0
		.amdhsa_system_sgpr_private_segment_wavefront_offset 0
		.amdhsa_system_sgpr_workgroup_id_x 1
		.amdhsa_system_sgpr_workgroup_id_y 0
		.amdhsa_system_sgpr_workgroup_id_z 0
		.amdhsa_system_sgpr_workgroup_info 0
		.amdhsa_system_vgpr_workitem_id 0
		.amdhsa_next_free_vgpr 49
		.amdhsa_next_free_sgpr 98
		.amdhsa_reserve_vcc 1
		.amdhsa_reserve_flat_scratch 0
		.amdhsa_float_round_mode_32 0
		.amdhsa_float_round_mode_16_64 0
		.amdhsa_float_denorm_mode_32 3
		.amdhsa_float_denorm_mode_16_64 3
		.amdhsa_dx10_clamp 1
		.amdhsa_ieee_mode 1
		.amdhsa_fp16_overflow 0
		.amdhsa_exception_fp_ieee_invalid_op 0
		.amdhsa_exception_fp_denorm_src 0
		.amdhsa_exception_fp_ieee_div_zero 0
		.amdhsa_exception_fp_ieee_overflow 0
		.amdhsa_exception_fp_ieee_underflow 0
		.amdhsa_exception_fp_ieee_inexact 0
		.amdhsa_exception_int_div_zero 0
	.end_amdhsa_kernel
	.section	.text._ZN9rocsparseL12csrilu0_hashILj256ELj64ELj8EfEEviPKiS2_PT2_S2_PiS2_S5_S5_d21rocsparse_index_base_imNS_24const_host_device_scalarIfEENS7_IdEENS7_IS3_EEb,"axG",@progbits,_ZN9rocsparseL12csrilu0_hashILj256ELj64ELj8EfEEviPKiS2_PT2_S2_PiS2_S5_S5_d21rocsparse_index_base_imNS_24const_host_device_scalarIfEENS7_IdEENS7_IS3_EEb,comdat
.Lfunc_end10:
	.size	_ZN9rocsparseL12csrilu0_hashILj256ELj64ELj8EfEEviPKiS2_PT2_S2_PiS2_S5_S5_d21rocsparse_index_base_imNS_24const_host_device_scalarIfEENS7_IdEENS7_IS3_EEb, .Lfunc_end10-_ZN9rocsparseL12csrilu0_hashILj256ELj64ELj8EfEEviPKiS2_PT2_S2_PiS2_S5_S5_d21rocsparse_index_base_imNS_24const_host_device_scalarIfEENS7_IdEENS7_IS3_EEb
                                        ; -- End function
	.set _ZN9rocsparseL12csrilu0_hashILj256ELj64ELj8EfEEviPKiS2_PT2_S2_PiS2_S5_S5_d21rocsparse_index_base_imNS_24const_host_device_scalarIfEENS7_IdEENS7_IS3_EEb.num_vgpr, 30
	.set _ZN9rocsparseL12csrilu0_hashILj256ELj64ELj8EfEEviPKiS2_PT2_S2_PiS2_S5_S5_d21rocsparse_index_base_imNS_24const_host_device_scalarIfEENS7_IdEENS7_IS3_EEb.num_agpr, 0
	.set _ZN9rocsparseL12csrilu0_hashILj256ELj64ELj8EfEEviPKiS2_PT2_S2_PiS2_S5_S5_d21rocsparse_index_base_imNS_24const_host_device_scalarIfEENS7_IdEENS7_IS3_EEb.numbered_sgpr, 62
	.set _ZN9rocsparseL12csrilu0_hashILj256ELj64ELj8EfEEviPKiS2_PT2_S2_PiS2_S5_S5_d21rocsparse_index_base_imNS_24const_host_device_scalarIfEENS7_IdEENS7_IS3_EEb.num_named_barrier, 0
	.set _ZN9rocsparseL12csrilu0_hashILj256ELj64ELj8EfEEviPKiS2_PT2_S2_PiS2_S5_S5_d21rocsparse_index_base_imNS_24const_host_device_scalarIfEENS7_IdEENS7_IS3_EEb.private_seg_size, 0
	.set _ZN9rocsparseL12csrilu0_hashILj256ELj64ELj8EfEEviPKiS2_PT2_S2_PiS2_S5_S5_d21rocsparse_index_base_imNS_24const_host_device_scalarIfEENS7_IdEENS7_IS3_EEb.uses_vcc, 1
	.set _ZN9rocsparseL12csrilu0_hashILj256ELj64ELj8EfEEviPKiS2_PT2_S2_PiS2_S5_S5_d21rocsparse_index_base_imNS_24const_host_device_scalarIfEENS7_IdEENS7_IS3_EEb.uses_flat_scratch, 0
	.set _ZN9rocsparseL12csrilu0_hashILj256ELj64ELj8EfEEviPKiS2_PT2_S2_PiS2_S5_S5_d21rocsparse_index_base_imNS_24const_host_device_scalarIfEENS7_IdEENS7_IS3_EEb.has_dyn_sized_stack, 0
	.set _ZN9rocsparseL12csrilu0_hashILj256ELj64ELj8EfEEviPKiS2_PT2_S2_PiS2_S5_S5_d21rocsparse_index_base_imNS_24const_host_device_scalarIfEENS7_IdEENS7_IS3_EEb.has_recursion, 0
	.set _ZN9rocsparseL12csrilu0_hashILj256ELj64ELj8EfEEviPKiS2_PT2_S2_PiS2_S5_S5_d21rocsparse_index_base_imNS_24const_host_device_scalarIfEENS7_IdEENS7_IS3_EEb.has_indirect_call, 0
	.section	.AMDGPU.csdata,"",@progbits
; Kernel info:
; codeLenInByte = 2556
; TotalNumSgprs: 66
; NumVgprs: 30
; ScratchSize: 0
; MemoryBound: 0
; FloatMode: 240
; IeeeMode: 1
; LDSByteSize: 16384 bytes/workgroup (compile time only)
; SGPRBlocks: 12
; VGPRBlocks: 12
; NumSGPRsForWavesPerEU: 102
; NumVGPRsForWavesPerEU: 49
; Occupancy: 4
; WaveLimiterHint : 1
; COMPUTE_PGM_RSRC2:SCRATCH_EN: 0
; COMPUTE_PGM_RSRC2:USER_SGPR: 6
; COMPUTE_PGM_RSRC2:TRAP_HANDLER: 0
; COMPUTE_PGM_RSRC2:TGID_X_EN: 1
; COMPUTE_PGM_RSRC2:TGID_Y_EN: 0
; COMPUTE_PGM_RSRC2:TGID_Z_EN: 0
; COMPUTE_PGM_RSRC2:TIDIG_COMP_CNT: 0
	.section	.text._ZN9rocsparseL12csrilu0_hashILj256ELj64ELj16EfEEviPKiS2_PT2_S2_PiS2_S5_S5_d21rocsparse_index_base_imNS_24const_host_device_scalarIfEENS7_IdEENS7_IS3_EEb,"axG",@progbits,_ZN9rocsparseL12csrilu0_hashILj256ELj64ELj16EfEEviPKiS2_PT2_S2_PiS2_S5_S5_d21rocsparse_index_base_imNS_24const_host_device_scalarIfEENS7_IdEENS7_IS3_EEb,comdat
	.globl	_ZN9rocsparseL12csrilu0_hashILj256ELj64ELj16EfEEviPKiS2_PT2_S2_PiS2_S5_S5_d21rocsparse_index_base_imNS_24const_host_device_scalarIfEENS7_IdEENS7_IS3_EEb ; -- Begin function _ZN9rocsparseL12csrilu0_hashILj256ELj64ELj16EfEEviPKiS2_PT2_S2_PiS2_S5_S5_d21rocsparse_index_base_imNS_24const_host_device_scalarIfEENS7_IdEENS7_IS3_EEb
	.p2align	8
	.type	_ZN9rocsparseL12csrilu0_hashILj256ELj64ELj16EfEEviPKiS2_PT2_S2_PiS2_S5_S5_d21rocsparse_index_base_imNS_24const_host_device_scalarIfEENS7_IdEENS7_IS3_EEb,@function
_ZN9rocsparseL12csrilu0_hashILj256ELj64ELj16EfEEviPKiS2_PT2_S2_PiS2_S5_S5_d21rocsparse_index_base_imNS_24const_host_device_scalarIfEENS7_IdEENS7_IS3_EEb: ; @_ZN9rocsparseL12csrilu0_hashILj256ELj64ELj16EfEEviPKiS2_PT2_S2_PiS2_S5_S5_d21rocsparse_index_base_imNS_24const_host_device_scalarIfEENS7_IdEENS7_IS3_EEb
; %bb.0:
	s_load_dword s0, s[4:5], 0x78
	s_load_dwordx2 s[2:3], s[4:5], 0x50
	s_load_dwordx8 s[24:31], s[4:5], 0x58
	s_waitcnt lgkmcnt(0)
	s_bitcmp1_b32 s0, 0
	s_cselect_b64 s[0:1], -1, 0
	s_cmp_eq_u32 s3, 0
	s_cselect_b64 s[8:9], -1, 0
	s_cmp_lg_u32 s3, 0
	s_cselect_b64 s[34:35], -1, 0
	s_or_b64 s[0:1], s[8:9], s[0:1]
	s_xor_b64 s[10:11], s[0:1], -1
	s_and_b64 s[12:13], s[8:9], exec
	s_cselect_b32 s13, 0, s29
	s_cselect_b32 s12, 0, s28
	s_and_b64 vcc, exec, s[0:1]
	s_cbranch_vccnz .LBB11_2
; %bb.1:
	s_load_dword s0, s[26:27], 0x0
	s_mov_b64 s[12:13], s[28:29]
	s_waitcnt lgkmcnt(0)
	v_mov_b32_e32 v14, s0
	s_branch .LBB11_3
.LBB11_2:
	v_mov_b32_e32 v1, s26
	v_cndmask_b32_e64 v14, v1, 0, s[8:9]
.LBB11_3:
	v_cndmask_b32_e64 v1, 0, 1, s[10:11]
	v_mov_b32_e32 v3, s12
	v_cmp_ne_u32_e64 s[0:1], 1, v1
	s_andn2_b64 vcc, exec, s[10:11]
	v_mov_b32_e32 v4, s13
	s_cbranch_vccnz .LBB11_5
; %bb.4:
	v_mov_b32_e32 v1, s28
	v_mov_b32_e32 v2, s29
	flat_load_dwordx2 v[3:4], v[1:2]
.LBB11_5:
	s_and_b64 vcc, exec, s[0:1]
	s_cbranch_vccnz .LBB11_7
; %bb.6:
	s_load_dword s0, s[30:31], 0x0
	s_waitcnt lgkmcnt(0)
	v_mov_b32_e32 v15, s0
	s_branch .LBB11_8
.LBB11_7:
	v_mov_b32_e32 v1, s30
	v_cndmask_b32_e64 v15, v1, 0, s[8:9]
.LBB11_8:
	v_and_b32_e32 v13, 63, v0
	v_lshrrev_b32_e32 v1, 6, v0
	v_lshlrev_b32_e32 v5, 12, v1
	v_lshlrev_b32_e32 v6, 2, v13
	s_movk_i32 s0, 0x4000
	v_or_b32_e32 v2, 0xffffffc0, v13
	v_or3_b32 v5, v5, v6, s0
	s_mov_b64 s[0:1], 0
	v_mov_b32_e32 v6, -1
	s_movk_i32 s3, 0x3bf
.LBB11_9:                               ; =>This Inner Loop Header: Depth=1
	v_add_u32_e32 v2, 64, v2
	v_cmp_lt_u32_e32 vcc, s3, v2
	ds_write_b32 v5, v6
	s_or_b64 s[0:1], vcc, s[0:1]
	v_add_u32_e32 v5, 0x100, v5
	s_andn2_b64 exec, exec, s[0:1]
	s_cbranch_execnz .LBB11_9
; %bb.10:
	s_or_b64 exec, exec, s[0:1]
	s_load_dword s0, s[4:5], 0x0
	s_lshl_b32 s1, s6, 2
	s_and_b32 s1, s1, 0x3fffffc
	v_or_b32_e32 v1, s1, v1
	s_waitcnt lgkmcnt(0)
	v_cmp_gt_i32_e32 vcc, s0, v1
	s_and_saveexec_b64 s[0:1], vcc
	s_cbranch_execz .LBB11_82
; %bb.11:
	s_load_dwordx16 s[8:23], s[4:5], 0x8
	v_lshlrev_b32_e32 v1, 2, v1
	v_lshlrev_b32_e32 v0, 6, v0
	v_and_b32_e32 v0, 0x3000, v0
	v_or_b32_e32 v16, 0x4000, v0
	s_waitcnt lgkmcnt(0)
	global_load_dword v5, v1, s[18:19]
	v_mov_b32_e32 v7, s9
	v_mov_b32_e32 v10, s15
	s_waitcnt vmcnt(0)
	v_ashrrev_i32_e32 v6, 31, v5
	v_lshlrev_b64 v[1:2], 2, v[5:6]
	v_add_co_u32_e32 v6, vcc, s8, v1
	v_addc_co_u32_e32 v7, vcc, v7, v2, vcc
	global_load_dwordx2 v[7:8], v[6:7], off
	v_add_co_u32_e32 v9, vcc, s14, v1
	v_addc_co_u32_e32 v10, vcc, v10, v2, vcc
	global_load_dword v6, v[9:10], off
	s_waitcnt vmcnt(1)
	v_subrev_u32_e32 v7, s2, v7
	v_subrev_u32_e32 v10, s2, v8
	v_add_u32_e32 v8, v7, v13
	v_cmp_lt_i32_e32 vcc, v8, v10
	s_and_saveexec_b64 s[0:1], vcc
	s_cbranch_execz .LBB11_34
; %bb.12:
	s_mov_b64 s[6:7], 0
	v_mov_b32_e32 v11, s11
	s_movk_i32 s3, 0x67
	v_mov_b32_e32 v12, -1
	s_branch .LBB11_14
.LBB11_13:                              ;   in Loop: Header=BB11_14 Depth=1
	s_or_b64 exec, exec, s[18:19]
	v_add_u32_e32 v8, 64, v8
	v_cmp_ge_i32_e32 vcc, v8, v10
	s_or_b64 s[6:7], vcc, s[6:7]
	s_andn2_b64 exec, exec, s[6:7]
	s_cbranch_execz .LBB11_34
.LBB11_14:                              ; =>This Loop Header: Depth=1
                                        ;     Child Loop BB11_23 Depth 2
	v_ashrrev_i32_e32 v9, 31, v8
	v_lshlrev_b64 v[17:18], 2, v[8:9]
	s_mov_b64 s[26:27], 0
	v_add_co_u32_e32 v17, vcc, s10, v17
	v_addc_co_u32_e32 v18, vcc, v11, v18, vcc
	global_load_dword v9, v[17:18], off
	v_mov_b32_e32 v17, 0x400
                                        ; implicit-def: $sgpr18_sgpr19
                                        ; implicit-def: $sgpr28_sgpr29
                                        ; implicit-def: $sgpr30_sgpr31
	s_waitcnt vmcnt(0)
	v_mul_lo_u32 v19, v9, s3
	s_branch .LBB11_23
.LBB11_15:                              ;   in Loop: Header=BB11_23 Depth=2
	s_or_b64 exec, exec, s[54:55]
	s_orn2_b64 s[50:51], s[50:51], exec
	s_orn2_b64 s[52:53], s[52:53], exec
.LBB11_16:                              ;   in Loop: Header=BB11_23 Depth=2
	s_or_b64 exec, exec, s[48:49]
	s_and_b64 s[50:51], s[50:51], exec
	s_orn2_b64 s[48:49], s[52:53], exec
.LBB11_17:                              ;   in Loop: Header=BB11_23 Depth=2
	s_or_b64 exec, exec, s[46:47]
	s_orn2_b64 s[50:51], s[50:51], exec
	s_orn2_b64 s[46:47], s[48:49], exec
.LBB11_18:                              ;   in Loop: Header=BB11_23 Depth=2
	s_or_b64 exec, exec, s[44:45]
	s_and_b64 s[48:49], s[50:51], exec
	s_orn2_b64 s[44:45], s[46:47], exec
.LBB11_19:                              ;   in Loop: Header=BB11_23 Depth=2
	s_or_b64 exec, exec, s[42:43]
	s_orn2_b64 s[42:43], s[48:49], exec
	s_orn2_b64 s[44:45], s[44:45], exec
.LBB11_20:                              ;   in Loop: Header=BB11_23 Depth=2
	s_or_b64 exec, exec, s[40:41]
	s_and_b64 s[42:43], s[42:43], exec
	s_orn2_b64 s[40:41], s[44:45], exec
.LBB11_21:                              ;   in Loop: Header=BB11_23 Depth=2
	s_or_b64 exec, exec, s[38:39]
	s_andn2_b64 s[30:31], s[30:31], exec
	s_and_b64 s[38:39], s[42:43], exec
	s_or_b64 s[30:31], s[30:31], s[38:39]
	s_andn2_b64 s[28:29], s[28:29], exec
	s_and_b64 s[38:39], s[40:41], exec
	s_or_b64 s[28:29], s[28:29], s[38:39]
.LBB11_22:                              ;   in Loop: Header=BB11_23 Depth=2
	s_or_b64 exec, exec, s[36:37]
	s_and_b64 s[36:37], exec, s[28:29]
	s_or_b64 s[26:27], s[36:37], s[26:27]
	s_andn2_b64 s[18:19], s[18:19], exec
	s_and_b64 s[36:37], s[30:31], exec
	s_or_b64 s[18:19], s[18:19], s[36:37]
	s_andn2_b64 exec, exec, s[26:27]
	s_cbranch_execz .LBB11_32
.LBB11_23:                              ;   Parent Loop BB11_14 Depth=1
                                        ; =>  This Inner Loop Header: Depth=2
	v_and_b32_e32 v18, 0x3ff, v19
	v_lshl_add_u32 v20, v18, 2, v16
	ds_read_b32 v21, v20
	s_or_b64 s[30:31], s[30:31], exec
	s_or_b64 s[28:29], s[28:29], exec
	s_waitcnt lgkmcnt(0)
	v_cmp_ne_u32_e32 vcc, v21, v9
	s_and_saveexec_b64 s[36:37], vcc
	s_cbranch_execz .LBB11_22
; %bb.24:                               ;   in Loop: Header=BB11_23 Depth=2
	ds_cmpst_rtn_b32 v20, v20, v12, v9
	s_mov_b64 s[40:41], -1
	s_mov_b64 s[42:43], 0
	s_waitcnt lgkmcnt(0)
	v_cmp_ne_u32_e32 vcc, -1, v20
	s_and_saveexec_b64 s[38:39], vcc
	s_cbranch_execz .LBB11_21
; %bb.25:                               ;   in Loop: Header=BB11_23 Depth=2
	v_add_u32_e32 v18, 1, v19
	v_and_b32_e32 v18, 0x3ff, v18
	v_lshl_add_u32 v20, v18, 2, v16
	ds_read_b32 v21, v20
	s_mov_b64 s[44:45], -1
	s_mov_b64 s[42:43], -1
	s_waitcnt lgkmcnt(0)
	v_cmp_ne_u32_e32 vcc, v21, v9
	s_and_saveexec_b64 s[40:41], vcc
	s_cbranch_execz .LBB11_20
; %bb.26:                               ;   in Loop: Header=BB11_23 Depth=2
	ds_cmpst_rtn_b32 v20, v20, v12, v9
	s_mov_b64 s[48:49], 0
	s_waitcnt lgkmcnt(0)
	v_cmp_ne_u32_e32 vcc, -1, v20
	s_and_saveexec_b64 s[42:43], vcc
	s_cbranch_execz .LBB11_19
; %bb.27:                               ;   in Loop: Header=BB11_23 Depth=2
	v_add_u32_e32 v18, 2, v19
	v_and_b32_e32 v18, 0x3ff, v18
	v_lshl_add_u32 v20, v18, 2, v16
	ds_read_b32 v21, v20
	s_mov_b64 s[46:47], -1
	s_mov_b64 s[50:51], -1
	s_waitcnt lgkmcnt(0)
	v_cmp_ne_u32_e32 vcc, v21, v9
	s_and_saveexec_b64 s[44:45], vcc
	s_cbranch_execz .LBB11_18
; %bb.28:                               ;   in Loop: Header=BB11_23 Depth=2
	ds_cmpst_rtn_b32 v20, v20, v12, v9
	s_mov_b64 s[48:49], -1
	s_mov_b64 s[50:51], 0
	s_waitcnt lgkmcnt(0)
	v_cmp_ne_u32_e32 vcc, -1, v20
	s_and_saveexec_b64 s[46:47], vcc
	s_cbranch_execz .LBB11_17
; %bb.29:                               ;   in Loop: Header=BB11_23 Depth=2
	v_add_u32_e32 v18, 3, v19
	v_and_b32_e32 v18, 0x3ff, v18
	v_lshl_add_u32 v20, v18, 2, v16
	ds_read_b32 v19, v20
	s_mov_b64 s[52:53], -1
	s_mov_b64 s[50:51], -1
	s_waitcnt lgkmcnt(0)
	v_cmp_ne_u32_e32 vcc, v19, v9
                                        ; implicit-def: $vgpr19
	s_and_saveexec_b64 s[48:49], vcc
	s_cbranch_execz .LBB11_16
; %bb.30:                               ;   in Loop: Header=BB11_23 Depth=2
	ds_cmpst_rtn_b32 v19, v20, v12, v9
	s_mov_b64 s[50:51], 0
	s_waitcnt lgkmcnt(0)
	v_cmp_ne_u32_e32 vcc, -1, v19
                                        ; implicit-def: $vgpr19
	s_and_saveexec_b64 s[54:55], vcc
	s_cbranch_execz .LBB11_15
; %bb.31:                               ;   in Loop: Header=BB11_23 Depth=2
	v_add_u32_e32 v17, -4, v17
	v_cmp_eq_u32_e32 vcc, 0, v17
	s_mov_b64 s[50:51], exec
	v_add_u32_e32 v19, 1, v18
	s_orn2_b64 s[52:53], vcc, exec
	s_branch .LBB11_15
.LBB11_32:                              ;   in Loop: Header=BB11_14 Depth=1
	s_or_b64 exec, exec, s[26:27]
	s_xor_b64 s[18:19], s[18:19], -1
	s_and_saveexec_b64 s[26:27], s[18:19]
	s_xor_b64 s[18:19], exec, s[26:27]
	s_cbranch_execz .LBB11_13
; %bb.33:                               ;   in Loop: Header=BB11_14 Depth=1
	v_lshl_add_u32 v9, v18, 2, v0
	ds_write_b32 v9, v8
	s_branch .LBB11_13
.LBB11_34:
	s_or_b64 exec, exec, s[0:1]
	s_waitcnt vmcnt(0)
	v_cmp_lt_i32_e32 vcc, v7, v6
	s_waitcnt lgkmcnt(0)
	s_and_saveexec_b64 s[0:1], vcc
	s_cbranch_execz .LBB11_64
; %bb.35:
	v_add_u32_e32 v17, 1, v13
	s_mov_b64 s[6:7], 0
	v_mov_b32_e32 v18, s11
	v_mov_b32_e32 v19, s13
	;; [unrolled: 1-line block ×5, first 2 shown]
	s_movk_i32 s3, 0x67
	s_branch .LBB11_38
.LBB11_36:                              ;   in Loop: Header=BB11_38 Depth=1
	s_or_b64 exec, exec, s[26:27]
	v_add_u32_e32 v7, 1, v7
	v_cmp_ge_i32_e32 vcc, v7, v6
	s_orn2_b64 s[26:27], vcc, exec
.LBB11_37:                              ;   in Loop: Header=BB11_38 Depth=1
	s_or_b64 exec, exec, s[18:19]
	s_and_b64 s[18:19], exec, s[26:27]
	s_or_b64 s[6:7], s[18:19], s[6:7]
	s_andn2_b64 exec, exec, s[6:7]
	s_cbranch_execz .LBB11_64
.LBB11_38:                              ; =>This Loop Header: Depth=1
                                        ;     Child Loop BB11_39 Depth 2
                                        ;     Child Loop BB11_44 Depth 2
                                        ;       Child Loop BB11_53 Depth 3
	v_ashrrev_i32_e32 v8, 31, v7
	v_lshlrev_b64 v[9:10], 2, v[7:8]
	s_mov_b64 s[18:19], 0
	v_add_co_u32_e32 v11, vcc, s10, v9
	v_addc_co_u32_e32 v12, vcc, v18, v10, vcc
	global_load_dword v8, v[11:12], off
	v_add_co_u32_e32 v9, vcc, s12, v9
	v_addc_co_u32_e32 v10, vcc, v19, v10, vcc
	global_load_dword v24, v[9:10], off
	s_waitcnt vmcnt(1)
	v_subrev_u32_e32 v11, s2, v8
	v_ashrrev_i32_e32 v12, 31, v11
	v_lshlrev_b64 v[11:12], 2, v[11:12]
	v_add_co_u32_e32 v26, vcc, s8, v11
	v_addc_co_u32_e32 v27, vcc, v20, v12, vcc
	v_add_co_u32_e32 v28, vcc, s14, v11
	v_addc_co_u32_e32 v29, vcc, v21, v12, vcc
	global_load_dword v8, v[26:27], off offset:4
	global_load_dword v25, v[28:29], off
	v_add_co_u32_e32 v11, vcc, s16, v11
	v_addc_co_u32_e32 v12, vcc, v22, v12, vcc
.LBB11_39:                              ;   Parent Loop BB11_38 Depth=1
                                        ; =>  This Inner Loop Header: Depth=2
	global_load_dword v23, v[11:12], off glc
	s_waitcnt vmcnt(0)
	v_cmp_ne_u32_e32 vcc, 0, v23
	s_or_b64 s[18:19], vcc, s[18:19]
	s_andn2_b64 exec, exec, s[18:19]
	s_cbranch_execnz .LBB11_39
; %bb.40:                               ;   in Loop: Header=BB11_38 Depth=1
	s_or_b64 exec, exec, s[18:19]
	v_subrev_u32_e32 v23, s2, v8
	v_add_u32_e32 v8, -1, v23
	v_cmp_eq_u32_e32 vcc, -1, v25
	v_cndmask_b32_e32 v11, v25, v8, vcc
	v_ashrrev_i32_e32 v12, 31, v11
	v_lshlrev_b64 v[25:26], 2, v[11:12]
	buffer_wbinvl1_vol
	v_add_co_u32_e32 v25, vcc, s12, v25
	v_addc_co_u32_e32 v26, vcc, v19, v26, vcc
	global_load_dword v12, v[25:26], off
	s_mov_b64 s[26:27], -1
	s_waitcnt vmcnt(0)
	v_cmp_neq_f32_e32 vcc, 0, v12
	s_and_saveexec_b64 s[18:19], vcc
	s_cbranch_execz .LBB11_37
; %bb.41:                               ;   in Loop: Header=BB11_38 Depth=1
	v_div_scale_f32 v8, s[26:27], v12, v12, v24
	v_div_scale_f32 v25, vcc, v24, v12, v24
	v_rcp_f32_e32 v26, v8
	v_fma_f32 v27, -v8, v26, 1.0
	v_fmac_f32_e32 v26, v27, v26
	v_mul_f32_e32 v27, v25, v26
	v_fma_f32 v28, -v8, v27, v25
	v_fmac_f32_e32 v27, v28, v26
	v_fma_f32 v8, -v8, v27, v25
	v_div_fmas_f32 v25, v8, v26, v27
	v_add_u32_e32 v8, v17, v11
	v_cmp_lt_i32_e32 vcc, v8, v23
	v_div_fixup_f32 v11, v25, v12, v24
	global_store_dword v[9:10], v11, off
	s_and_saveexec_b64 s[26:27], vcc
	s_cbranch_execz .LBB11_36
; %bb.42:                               ;   in Loop: Header=BB11_38 Depth=1
	s_mov_b64 s[28:29], 0
	s_branch .LBB11_44
.LBB11_43:                              ;   in Loop: Header=BB11_44 Depth=2
	s_or_b64 exec, exec, s[30:31]
	v_add_u32_e32 v8, 64, v8
	v_cmp_ge_i32_e32 vcc, v8, v23
	s_or_b64 s[28:29], vcc, s[28:29]
	s_andn2_b64 exec, exec, s[28:29]
	s_cbranch_execz .LBB11_36
.LBB11_44:                              ;   Parent Loop BB11_38 Depth=1
                                        ; =>  This Loop Header: Depth=2
                                        ;       Child Loop BB11_53 Depth 3
	v_ashrrev_i32_e32 v9, 31, v8
	v_lshlrev_b64 v[9:10], 2, v[8:9]
	s_mov_b64 s[36:37], 0
	v_add_co_u32_e32 v24, vcc, s10, v9
	v_addc_co_u32_e32 v25, vcc, v18, v10, vcc
	global_load_dword v12, v[24:25], off
	v_mov_b32_e32 v24, 0x400
                                        ; implicit-def: $sgpr30_sgpr31
                                        ; implicit-def: $sgpr38_sgpr39
                                        ; implicit-def: $sgpr40_sgpr41
	s_waitcnt vmcnt(0)
	v_mul_lo_u32 v26, v12, s3
	s_branch .LBB11_53
.LBB11_45:                              ;   in Loop: Header=BB11_53 Depth=3
	s_or_b64 exec, exec, s[60:61]
	s_orn2_b64 s[56:57], s[56:57], exec
	s_orn2_b64 s[58:59], s[58:59], exec
.LBB11_46:                              ;   in Loop: Header=BB11_53 Depth=3
	s_or_b64 exec, exec, s[54:55]
	s_and_b64 s[56:57], s[56:57], exec
	s_orn2_b64 s[54:55], s[58:59], exec
.LBB11_47:                              ;   in Loop: Header=BB11_53 Depth=3
	s_or_b64 exec, exec, s[52:53]
	s_orn2_b64 s[56:57], s[56:57], exec
	s_orn2_b64 s[52:53], s[54:55], exec
.LBB11_48:                              ;   in Loop: Header=BB11_53 Depth=3
	s_or_b64 exec, exec, s[50:51]
	s_and_b64 s[54:55], s[56:57], exec
	s_orn2_b64 s[50:51], s[52:53], exec
.LBB11_49:                              ;   in Loop: Header=BB11_53 Depth=3
	s_or_b64 exec, exec, s[48:49]
	s_orn2_b64 s[48:49], s[54:55], exec
	s_orn2_b64 s[50:51], s[50:51], exec
.LBB11_50:                              ;   in Loop: Header=BB11_53 Depth=3
	s_or_b64 exec, exec, s[46:47]
	s_and_b64 s[48:49], s[48:49], exec
	s_orn2_b64 s[46:47], s[50:51], exec
.LBB11_51:                              ;   in Loop: Header=BB11_53 Depth=3
	s_or_b64 exec, exec, s[44:45]
	s_andn2_b64 s[40:41], s[40:41], exec
	s_and_b64 s[44:45], s[48:49], exec
	s_or_b64 s[40:41], s[40:41], s[44:45]
	s_andn2_b64 s[38:39], s[38:39], exec
	s_and_b64 s[44:45], s[46:47], exec
	s_or_b64 s[38:39], s[38:39], s[44:45]
.LBB11_52:                              ;   in Loop: Header=BB11_53 Depth=3
	s_or_b64 exec, exec, s[42:43]
	s_and_b64 s[42:43], exec, s[38:39]
	s_or_b64 s[36:37], s[42:43], s[36:37]
	s_andn2_b64 s[30:31], s[30:31], exec
	s_and_b64 s[42:43], s[40:41], exec
	s_or_b64 s[30:31], s[30:31], s[42:43]
	s_andn2_b64 exec, exec, s[36:37]
	s_cbranch_execz .LBB11_62
.LBB11_53:                              ;   Parent Loop BB11_38 Depth=1
                                        ;     Parent Loop BB11_44 Depth=2
                                        ; =>    This Inner Loop Header: Depth=3
	v_and_b32_e32 v25, 0x3ff, v26
	v_lshl_add_u32 v27, v25, 2, v16
	ds_read_b32 v27, v27
	s_or_b64 s[40:41], s[40:41], exec
	s_or_b64 s[38:39], s[38:39], exec
	s_waitcnt lgkmcnt(0)
	v_cmp_ne_u32_e32 vcc, -1, v27
	s_and_saveexec_b64 s[42:43], vcc
	s_cbranch_execz .LBB11_52
; %bb.54:                               ;   in Loop: Header=BB11_53 Depth=3
	v_cmp_ne_u32_e32 vcc, v27, v12
	s_mov_b64 s[46:47], -1
	s_mov_b64 s[48:49], 0
	s_and_saveexec_b64 s[44:45], vcc
	s_cbranch_execz .LBB11_51
; %bb.55:                               ;   in Loop: Header=BB11_53 Depth=3
	v_add_u32_e32 v25, 1, v26
	v_and_b32_e32 v25, 0x3ff, v25
	v_lshl_add_u32 v27, v25, 2, v16
	ds_read_b32 v27, v27
	s_mov_b64 s[50:51], -1
	s_mov_b64 s[48:49], -1
	s_waitcnt lgkmcnt(0)
	v_cmp_ne_u32_e32 vcc, -1, v27
	s_and_saveexec_b64 s[46:47], vcc
	s_cbranch_execz .LBB11_50
; %bb.56:                               ;   in Loop: Header=BB11_53 Depth=3
	v_cmp_ne_u32_e32 vcc, v27, v12
	s_mov_b64 s[54:55], 0
	s_and_saveexec_b64 s[48:49], vcc
	s_cbranch_execz .LBB11_49
; %bb.57:                               ;   in Loop: Header=BB11_53 Depth=3
	v_add_u32_e32 v25, 2, v26
	v_and_b32_e32 v25, 0x3ff, v25
	v_lshl_add_u32 v27, v25, 2, v16
	ds_read_b32 v27, v27
	s_mov_b64 s[52:53], -1
	s_mov_b64 s[56:57], -1
	s_waitcnt lgkmcnt(0)
	v_cmp_ne_u32_e32 vcc, -1, v27
	s_and_saveexec_b64 s[50:51], vcc
	s_cbranch_execz .LBB11_48
; %bb.58:                               ;   in Loop: Header=BB11_53 Depth=3
	v_cmp_ne_u32_e32 vcc, v27, v12
	s_mov_b64 s[54:55], -1
	s_mov_b64 s[56:57], 0
	s_and_saveexec_b64 s[52:53], vcc
	s_cbranch_execz .LBB11_47
; %bb.59:                               ;   in Loop: Header=BB11_53 Depth=3
	v_add_u32_e32 v25, 3, v26
	v_and_b32_e32 v25, 0x3ff, v25
	v_lshl_add_u32 v26, v25, 2, v16
	ds_read_b32 v27, v26
	s_mov_b64 s[58:59], -1
	s_mov_b64 s[56:57], -1
                                        ; implicit-def: $vgpr26
	s_waitcnt lgkmcnt(0)
	v_cmp_ne_u32_e32 vcc, -1, v27
	s_and_saveexec_b64 s[54:55], vcc
	s_cbranch_execz .LBB11_46
; %bb.60:                               ;   in Loop: Header=BB11_53 Depth=3
	v_cmp_ne_u32_e32 vcc, v27, v12
	s_mov_b64 s[56:57], 0
                                        ; implicit-def: $vgpr26
	s_and_saveexec_b64 s[60:61], vcc
	s_cbranch_execz .LBB11_45
; %bb.61:                               ;   in Loop: Header=BB11_53 Depth=3
	v_add_u32_e32 v24, -4, v24
	v_cmp_eq_u32_e32 vcc, 0, v24
	s_mov_b64 s[56:57], exec
	v_add_u32_e32 v26, 1, v25
	s_orn2_b64 s[58:59], vcc, exec
	s_branch .LBB11_45
.LBB11_62:                              ;   in Loop: Header=BB11_44 Depth=2
	s_or_b64 exec, exec, s[36:37]
	s_xor_b64 s[30:31], s[30:31], -1
	s_and_saveexec_b64 s[36:37], s[30:31]
	s_xor_b64 s[30:31], exec, s[36:37]
	s_cbranch_execz .LBB11_43
; %bb.63:                               ;   in Loop: Header=BB11_44 Depth=2
	v_lshl_add_u32 v12, v25, 2, v0
	ds_read_b32 v24, v12
	v_add_co_u32_e32 v9, vcc, s12, v9
	v_addc_co_u32_e32 v10, vcc, v19, v10, vcc
	s_waitcnt lgkmcnt(0)
	v_ashrrev_i32_e32 v25, 31, v24
	v_lshlrev_b64 v[24:25], 2, v[24:25]
	v_add_co_u32_e32 v24, vcc, s12, v24
	v_addc_co_u32_e32 v25, vcc, v19, v25, vcc
	global_load_dword v12, v[9:10], off
	global_load_dword v26, v[24:25], off
	s_waitcnt vmcnt(0)
	v_fma_f32 v9, -v11, v12, v26
	global_store_dword v[24:25], v9, off
	s_branch .LBB11_43
.LBB11_64:
	s_or_b64 exec, exec, s[0:1]
	v_cmp_lt_i32_e32 vcc, -1, v6
	s_and_saveexec_b64 s[6:7], vcc
	s_cbranch_execz .LBB11_80
; %bb.65:
	v_mov_b32_e32 v7, 0
	v_lshlrev_b64 v[6:7], 2, v[6:7]
	v_mov_b32_e32 v0, s13
	v_add_co_u32_e32 v8, vcc, s12, v6
	v_addc_co_u32_e32 v9, vcc, v0, v7, vcc
	global_load_dword v0, v[8:9], off
	v_cmp_eq_u32_e64 s[0:1], 0, v13
	s_mov_b64 s[8:9], -1
	s_waitcnt vmcnt(0)
	v_cmp_gt_f32_e32 vcc, 0, v0
	v_cndmask_b32_e64 v6, v0, -v0, vcc
	v_cvt_f64_f32_e32 v[6:7], v6
	s_andn2_b64 vcc, exec, s[34:35]
	s_cbranch_vccnz .LBB11_69
; %bb.66:
	v_cvt_f64_f32_e32 v[10:11], v14
	s_cmp_eq_u64 s[24:25], 8
	s_cselect_b64 vcc, -1, 0
	v_cndmask_b32_e32 v4, v11, v4, vcc
	v_cndmask_b32_e32 v3, v10, v3, vcc
	v_cmp_ge_f64_e32 vcc, v[3:4], v[6:7]
	s_and_b64 s[10:11], s[0:1], vcc
	s_and_saveexec_b64 s[8:9], s[10:11]
	s_cbranch_execz .LBB11_68
; %bb.67:
	global_store_dword v[8:9], v15, off
	s_waitcnt vmcnt(0)
	buffer_wbinvl1_vol
.LBB11_68:
	s_or_b64 exec, exec, s[8:9]
	s_mov_b64 s[8:9], 0
.LBB11_69:
	s_andn2_b64 vcc, exec, s[8:9]
	s_cbranch_vccnz .LBB11_80
; %bb.70:
	s_load_dwordx2 s[4:5], s[4:5], 0x48
	v_add_u32_e32 v3, s2, v5
	s_waitcnt lgkmcnt(0)
	v_cmp_ge_f64_e32 vcc, s[4:5], v[6:7]
	s_and_b64 s[4:5], s[0:1], vcc
	s_and_saveexec_b64 s[2:3], s[4:5]
	s_cbranch_execz .LBB11_75
; %bb.71:
	s_mov_b64 s[4:5], exec
	s_brev_b32 s8, -2
.LBB11_72:                              ; =>This Inner Loop Header: Depth=1
	s_ff1_i32_b64 s9, s[4:5]
	v_readlane_b32 s12, v3, s9
	s_lshl_b64 s[10:11], 1, s9
	s_min_i32 s8, s8, s12
	s_andn2_b64 s[4:5], s[4:5], s[10:11]
	s_cmp_lg_u64 s[4:5], 0
	s_cbranch_scc1 .LBB11_72
; %bb.73:
	v_mbcnt_lo_u32_b32 v4, exec_lo, 0
	v_mbcnt_hi_u32_b32 v4, exec_hi, v4
	v_cmp_eq_u32_e32 vcc, 0, v4
	s_and_saveexec_b64 s[4:5], vcc
	s_xor_b64 s[4:5], exec, s[4:5]
	s_cbranch_execz .LBB11_75
; %bb.74:
	v_mov_b32_e32 v4, 0
	v_mov_b32_e32 v5, s8
	global_atomic_smin v4, v5, s[22:23]
.LBB11_75:
	s_or_b64 exec, exec, s[2:3]
	v_cmp_eq_f32_e32 vcc, 0, v0
	s_and_b64 s[0:1], s[0:1], vcc
	s_and_b64 exec, exec, s[0:1]
	s_cbranch_execz .LBB11_80
; %bb.76:
	s_mov_b64 s[0:1], exec
	s_brev_b32 s2, -2
.LBB11_77:                              ; =>This Inner Loop Header: Depth=1
	s_ff1_i32_b64 s3, s[0:1]
	v_readlane_b32 s8, v3, s3
	s_lshl_b64 s[4:5], 1, s3
	s_min_i32 s2, s2, s8
	s_andn2_b64 s[0:1], s[0:1], s[4:5]
	s_cmp_lg_u64 s[0:1], 0
	s_cbranch_scc1 .LBB11_77
; %bb.78:
	v_mbcnt_lo_u32_b32 v0, exec_lo, 0
	v_mbcnt_hi_u32_b32 v0, exec_hi, v0
	v_cmp_eq_u32_e32 vcc, 0, v0
	s_and_saveexec_b64 s[0:1], vcc
	s_xor_b64 s[0:1], exec, s[0:1]
	s_cbranch_execz .LBB11_80
; %bb.79:
	v_mov_b32_e32 v0, 0
	v_mov_b32_e32 v3, s2
	global_atomic_smin v0, v3, s[20:21]
.LBB11_80:
	s_or_b64 exec, exec, s[6:7]
	v_cmp_eq_u32_e32 vcc, 0, v13
	s_waitcnt vmcnt(0)
	buffer_wbinvl1_vol
	s_and_b64 exec, exec, vcc
	s_cbranch_execz .LBB11_82
; %bb.81:
	v_mov_b32_e32 v3, s17
	v_add_co_u32_e32 v0, vcc, s16, v1
	v_addc_co_u32_e32 v1, vcc, v3, v2, vcc
	v_mov_b32_e32 v2, 1
	global_store_dword v[0:1], v2, off
.LBB11_82:
	s_endpgm
	.section	.rodata,"a",@progbits
	.p2align	6, 0x0
	.amdhsa_kernel _ZN9rocsparseL12csrilu0_hashILj256ELj64ELj16EfEEviPKiS2_PT2_S2_PiS2_S5_S5_d21rocsparse_index_base_imNS_24const_host_device_scalarIfEENS7_IdEENS7_IS3_EEb
		.amdhsa_group_segment_fixed_size 32768
		.amdhsa_private_segment_fixed_size 0
		.amdhsa_kernarg_size 124
		.amdhsa_user_sgpr_count 6
		.amdhsa_user_sgpr_private_segment_buffer 1
		.amdhsa_user_sgpr_dispatch_ptr 0
		.amdhsa_user_sgpr_queue_ptr 0
		.amdhsa_user_sgpr_kernarg_segment_ptr 1
		.amdhsa_user_sgpr_dispatch_id 0
		.amdhsa_user_sgpr_flat_scratch_init 0
		.amdhsa_user_sgpr_private_segment_size 0
		.amdhsa_uses_dynamic_stack 0
		.amdhsa_system_sgpr_private_segment_wavefront_offset 0
		.amdhsa_system_sgpr_workgroup_id_x 1
		.amdhsa_system_sgpr_workgroup_id_y 0
		.amdhsa_system_sgpr_workgroup_id_z 0
		.amdhsa_system_sgpr_workgroup_info 0
		.amdhsa_system_vgpr_workitem_id 0
		.amdhsa_next_free_vgpr 85
		.amdhsa_next_free_sgpr 98
		.amdhsa_reserve_vcc 1
		.amdhsa_reserve_flat_scratch 0
		.amdhsa_float_round_mode_32 0
		.amdhsa_float_round_mode_16_64 0
		.amdhsa_float_denorm_mode_32 3
		.amdhsa_float_denorm_mode_16_64 3
		.amdhsa_dx10_clamp 1
		.amdhsa_ieee_mode 1
		.amdhsa_fp16_overflow 0
		.amdhsa_exception_fp_ieee_invalid_op 0
		.amdhsa_exception_fp_denorm_src 0
		.amdhsa_exception_fp_ieee_div_zero 0
		.amdhsa_exception_fp_ieee_overflow 0
		.amdhsa_exception_fp_ieee_underflow 0
		.amdhsa_exception_fp_ieee_inexact 0
		.amdhsa_exception_int_div_zero 0
	.end_amdhsa_kernel
	.section	.text._ZN9rocsparseL12csrilu0_hashILj256ELj64ELj16EfEEviPKiS2_PT2_S2_PiS2_S5_S5_d21rocsparse_index_base_imNS_24const_host_device_scalarIfEENS7_IdEENS7_IS3_EEb,"axG",@progbits,_ZN9rocsparseL12csrilu0_hashILj256ELj64ELj16EfEEviPKiS2_PT2_S2_PiS2_S5_S5_d21rocsparse_index_base_imNS_24const_host_device_scalarIfEENS7_IdEENS7_IS3_EEb,comdat
.Lfunc_end11:
	.size	_ZN9rocsparseL12csrilu0_hashILj256ELj64ELj16EfEEviPKiS2_PT2_S2_PiS2_S5_S5_d21rocsparse_index_base_imNS_24const_host_device_scalarIfEENS7_IdEENS7_IS3_EEb, .Lfunc_end11-_ZN9rocsparseL12csrilu0_hashILj256ELj64ELj16EfEEviPKiS2_PT2_S2_PiS2_S5_S5_d21rocsparse_index_base_imNS_24const_host_device_scalarIfEENS7_IdEENS7_IS3_EEb
                                        ; -- End function
	.set _ZN9rocsparseL12csrilu0_hashILj256ELj64ELj16EfEEviPKiS2_PT2_S2_PiS2_S5_S5_d21rocsparse_index_base_imNS_24const_host_device_scalarIfEENS7_IdEENS7_IS3_EEb.num_vgpr, 30
	.set _ZN9rocsparseL12csrilu0_hashILj256ELj64ELj16EfEEviPKiS2_PT2_S2_PiS2_S5_S5_d21rocsparse_index_base_imNS_24const_host_device_scalarIfEENS7_IdEENS7_IS3_EEb.num_agpr, 0
	.set _ZN9rocsparseL12csrilu0_hashILj256ELj64ELj16EfEEviPKiS2_PT2_S2_PiS2_S5_S5_d21rocsparse_index_base_imNS_24const_host_device_scalarIfEENS7_IdEENS7_IS3_EEb.numbered_sgpr, 62
	.set _ZN9rocsparseL12csrilu0_hashILj256ELj64ELj16EfEEviPKiS2_PT2_S2_PiS2_S5_S5_d21rocsparse_index_base_imNS_24const_host_device_scalarIfEENS7_IdEENS7_IS3_EEb.num_named_barrier, 0
	.set _ZN9rocsparseL12csrilu0_hashILj256ELj64ELj16EfEEviPKiS2_PT2_S2_PiS2_S5_S5_d21rocsparse_index_base_imNS_24const_host_device_scalarIfEENS7_IdEENS7_IS3_EEb.private_seg_size, 0
	.set _ZN9rocsparseL12csrilu0_hashILj256ELj64ELj16EfEEviPKiS2_PT2_S2_PiS2_S5_S5_d21rocsparse_index_base_imNS_24const_host_device_scalarIfEENS7_IdEENS7_IS3_EEb.uses_vcc, 1
	.set _ZN9rocsparseL12csrilu0_hashILj256ELj64ELj16EfEEviPKiS2_PT2_S2_PiS2_S5_S5_d21rocsparse_index_base_imNS_24const_host_device_scalarIfEENS7_IdEENS7_IS3_EEb.uses_flat_scratch, 0
	.set _ZN9rocsparseL12csrilu0_hashILj256ELj64ELj16EfEEviPKiS2_PT2_S2_PiS2_S5_S5_d21rocsparse_index_base_imNS_24const_host_device_scalarIfEENS7_IdEENS7_IS3_EEb.has_dyn_sized_stack, 0
	.set _ZN9rocsparseL12csrilu0_hashILj256ELj64ELj16EfEEviPKiS2_PT2_S2_PiS2_S5_S5_d21rocsparse_index_base_imNS_24const_host_device_scalarIfEENS7_IdEENS7_IS3_EEb.has_recursion, 0
	.set _ZN9rocsparseL12csrilu0_hashILj256ELj64ELj16EfEEviPKiS2_PT2_S2_PiS2_S5_S5_d21rocsparse_index_base_imNS_24const_host_device_scalarIfEENS7_IdEENS7_IS3_EEb.has_indirect_call, 0
	.section	.AMDGPU.csdata,"",@progbits
; Kernel info:
; codeLenInByte = 2556
; TotalNumSgprs: 66
; NumVgprs: 30
; ScratchSize: 0
; MemoryBound: 0
; FloatMode: 240
; IeeeMode: 1
; LDSByteSize: 32768 bytes/workgroup (compile time only)
; SGPRBlocks: 12
; VGPRBlocks: 21
; NumSGPRsForWavesPerEU: 102
; NumVGPRsForWavesPerEU: 85
; Occupancy: 2
; WaveLimiterHint : 1
; COMPUTE_PGM_RSRC2:SCRATCH_EN: 0
; COMPUTE_PGM_RSRC2:USER_SGPR: 6
; COMPUTE_PGM_RSRC2:TRAP_HANDLER: 0
; COMPUTE_PGM_RSRC2:TGID_X_EN: 1
; COMPUTE_PGM_RSRC2:TGID_Y_EN: 0
; COMPUTE_PGM_RSRC2:TGID_Z_EN: 0
; COMPUTE_PGM_RSRC2:TIDIG_COMP_CNT: 0
	.section	.text._ZN9rocsparseL17csrilu0_binsearchILj256ELj64ELb0EfEEviPKiS2_PT2_S2_PiS2_S5_S5_d21rocsparse_index_base_imNS_24const_host_device_scalarIfEENS7_IdEENS7_IS3_EEb,"axG",@progbits,_ZN9rocsparseL17csrilu0_binsearchILj256ELj64ELb0EfEEviPKiS2_PT2_S2_PiS2_S5_S5_d21rocsparse_index_base_imNS_24const_host_device_scalarIfEENS7_IdEENS7_IS3_EEb,comdat
	.globl	_ZN9rocsparseL17csrilu0_binsearchILj256ELj64ELb0EfEEviPKiS2_PT2_S2_PiS2_S5_S5_d21rocsparse_index_base_imNS_24const_host_device_scalarIfEENS7_IdEENS7_IS3_EEb ; -- Begin function _ZN9rocsparseL17csrilu0_binsearchILj256ELj64ELb0EfEEviPKiS2_PT2_S2_PiS2_S5_S5_d21rocsparse_index_base_imNS_24const_host_device_scalarIfEENS7_IdEENS7_IS3_EEb
	.p2align	8
	.type	_ZN9rocsparseL17csrilu0_binsearchILj256ELj64ELb0EfEEviPKiS2_PT2_S2_PiS2_S5_S5_d21rocsparse_index_base_imNS_24const_host_device_scalarIfEENS7_IdEENS7_IS3_EEb,@function
_ZN9rocsparseL17csrilu0_binsearchILj256ELj64ELb0EfEEviPKiS2_PT2_S2_PiS2_S5_S5_d21rocsparse_index_base_imNS_24const_host_device_scalarIfEENS7_IdEENS7_IS3_EEb: ; @_ZN9rocsparseL17csrilu0_binsearchILj256ELj64ELb0EfEEviPKiS2_PT2_S2_PiS2_S5_S5_d21rocsparse_index_base_imNS_24const_host_device_scalarIfEENS7_IdEENS7_IS3_EEb
; %bb.0:
	s_load_dword s0, s[4:5], 0x78
	s_load_dwordx2 s[2:3], s[4:5], 0x50
	s_load_dwordx8 s[24:31], s[4:5], 0x58
	s_waitcnt lgkmcnt(0)
	s_bitcmp1_b32 s0, 0
	s_cselect_b64 s[0:1], -1, 0
	s_cmp_eq_u32 s3, 0
	s_cselect_b64 s[8:9], -1, 0
	s_cmp_lg_u32 s3, 0
	s_cselect_b64 s[34:35], -1, 0
	s_or_b64 s[0:1], s[8:9], s[0:1]
	s_xor_b64 s[10:11], s[0:1], -1
	s_and_b64 s[12:13], s[8:9], exec
	s_cselect_b32 s13, 0, s29
	s_cselect_b32 s12, 0, s28
	s_and_b64 vcc, exec, s[0:1]
	s_cbranch_vccnz .LBB12_2
; %bb.1:
	s_load_dword s0, s[26:27], 0x0
	s_mov_b64 s[12:13], s[28:29]
	s_waitcnt lgkmcnt(0)
	v_mov_b32_e32 v15, s0
	s_branch .LBB12_3
.LBB12_2:
	v_mov_b32_e32 v1, s26
	v_cndmask_b32_e64 v15, v1, 0, s[8:9]
.LBB12_3:
	v_cndmask_b32_e64 v1, 0, 1, s[10:11]
	v_mov_b32_e32 v3, s12
	v_cmp_ne_u32_e64 s[0:1], 1, v1
	s_andn2_b64 vcc, exec, s[10:11]
	v_mov_b32_e32 v4, s13
	s_cbranch_vccnz .LBB12_5
; %bb.4:
	v_mov_b32_e32 v1, s28
	v_mov_b32_e32 v2, s29
	flat_load_dwordx2 v[3:4], v[1:2]
.LBB12_5:
	s_and_b64 vcc, exec, s[0:1]
	s_cbranch_vccnz .LBB12_7
; %bb.6:
	s_load_dword s0, s[30:31], 0x0
	s_waitcnt lgkmcnt(0)
	v_mov_b32_e32 v16, s0
	s_branch .LBB12_8
.LBB12_7:
	v_mov_b32_e32 v1, s30
	v_cndmask_b32_e64 v16, v1, 0, s[8:9]
.LBB12_8:
	s_load_dword s0, s[4:5], 0x0
	s_lshl_b32 s1, s6, 2
	v_lshrrev_b32_e32 v1, 6, v0
	s_and_b32 s1, s1, 0x3fffffc
	v_or_b32_e32 v1, s1, v1
	s_waitcnt lgkmcnt(0)
	v_cmp_gt_i32_e32 vcc, s0, v1
	s_and_saveexec_b64 s[0:1], vcc
	s_cbranch_execz .LBB12_44
; %bb.9:
	s_load_dwordx16 s[8:23], s[4:5], 0x8
	v_lshlrev_b32_e32 v1, 2, v1
	v_and_b32_e32 v0, 63, v0
	s_waitcnt lgkmcnt(0)
	global_load_dword v5, v1, s[18:19]
	v_mov_b32_e32 v7, s15
	v_mov_b32_e32 v9, s9
	s_waitcnt vmcnt(0)
	v_ashrrev_i32_e32 v6, 31, v5
	v_lshlrev_b64 v[1:2], 2, v[5:6]
	v_add_co_u32_e32 v10, vcc, s14, v1
	v_addc_co_u32_e32 v11, vcc, v7, v2, vcc
	v_add_co_u32_e32 v8, vcc, s8, v1
	v_addc_co_u32_e32 v9, vcc, v9, v2, vcc
	global_load_dword v7, v[8:9], off
	global_load_dword v6, v[10:11], off
	s_waitcnt vmcnt(1)
	v_subrev_u32_e32 v7, s2, v7
	s_waitcnt vmcnt(0)
	v_cmp_lt_i32_e32 vcc, v7, v6
	s_and_saveexec_b64 s[0:1], vcc
	s_cbranch_execz .LBB12_26
; %bb.10:
	global_load_dword v8, v[8:9], off offset:4
	v_add_u32_e32 v17, 1, v0
	s_mov_b64 s[6:7], 0
	v_mov_b32_e32 v18, s11
	v_mov_b32_e32 v19, s13
	;; [unrolled: 1-line block ×5, first 2 shown]
	s_waitcnt vmcnt(0)
	v_xad_u32 v22, s2, -1, v8
	s_branch .LBB12_13
.LBB12_11:                              ;   in Loop: Header=BB12_13 Depth=1
	s_or_b64 exec, exec, s[26:27]
	v_cmp_ge_i32_e32 vcc, v7, v6
	s_orn2_b64 s[26:27], vcc, exec
.LBB12_12:                              ;   in Loop: Header=BB12_13 Depth=1
	s_or_b64 exec, exec, s[18:19]
	s_and_b64 s[18:19], exec, s[26:27]
	s_or_b64 s[6:7], s[18:19], s[6:7]
	s_andn2_b64 exec, exec, s[6:7]
	s_cbranch_execz .LBB12_26
.LBB12_13:                              ; =>This Loop Header: Depth=1
                                        ;     Child Loop BB12_15 Depth 2
                                        ;     Child Loop BB12_20 Depth 2
                                        ;       Child Loop BB12_22 Depth 3
	v_ashrrev_i32_e32 v8, 31, v7
	v_lshlrev_b64 v[9:10], 2, v[7:8]
	v_add_co_u32_e32 v11, vcc, s10, v9
	v_addc_co_u32_e32 v12, vcc, v18, v10, vcc
	global_load_dword v8, v[11:12], off
	v_add_co_u32_e32 v9, vcc, s12, v9
	v_addc_co_u32_e32 v10, vcc, v19, v10, vcc
	global_load_dword v13, v[9:10], off
	s_waitcnt vmcnt(1)
	v_subrev_u32_e32 v11, s2, v8
	v_ashrrev_i32_e32 v12, 31, v11
	v_lshlrev_b64 v[11:12], 2, v[11:12]
	v_add_co_u32_e32 v24, vcc, s8, v11
	v_addc_co_u32_e32 v25, vcc, v20, v12, vcc
	v_add_co_u32_e32 v26, vcc, s14, v11
	v_addc_co_u32_e32 v27, vcc, v21, v12, vcc
	;; [unrolled: 2-line block ×3, first 2 shown]
	global_load_dword v14, v[24:25], off offset:4
	global_load_dword v8, v[26:27], off
	global_load_dword v28, v[11:12], off glc
	s_waitcnt vmcnt(0)
	v_cmp_eq_u32_e32 vcc, 0, v28
	s_and_saveexec_b64 s[18:19], vcc
	s_cbranch_execz .LBB12_16
; %bb.14:                               ;   in Loop: Header=BB12_13 Depth=1
	s_mov_b64 s[26:27], 0
.LBB12_15:                              ;   Parent Loop BB12_13 Depth=1
                                        ; =>  This Inner Loop Header: Depth=2
	global_load_dword v24, v[11:12], off glc
	s_waitcnt vmcnt(0)
	v_cmp_ne_u32_e32 vcc, 0, v24
	s_or_b64 s[26:27], vcc, s[26:27]
	s_andn2_b64 exec, exec, s[26:27]
	s_cbranch_execnz .LBB12_15
.LBB12_16:                              ;   in Loop: Header=BB12_13 Depth=1
	s_or_b64 exec, exec, s[18:19]
	v_subrev_u32_e32 v24, s2, v14
	v_add_u32_e32 v11, -1, v24
	v_cmp_eq_u32_e32 vcc, -1, v8
	v_cndmask_b32_e32 v11, v8, v11, vcc
	v_ashrrev_i32_e32 v12, 31, v11
	v_lshlrev_b64 v[25:26], 2, v[11:12]
	v_mov_b32_e32 v8, s13
	v_add_co_u32_e32 v25, vcc, s12, v25
	v_addc_co_u32_e32 v26, vcc, v8, v26, vcc
	buffer_wbinvl1_vol
	global_load_dword v12, v[25:26], off
	s_mov_b64 s[26:27], -1
	s_waitcnt vmcnt(0)
	v_cmp_neq_f32_e32 vcc, 0, v12
	s_and_saveexec_b64 s[18:19], vcc
	s_xor_b64 s[18:19], exec, s[18:19]
	s_cbranch_execz .LBB12_12
; %bb.17:                               ;   in Loop: Header=BB12_13 Depth=1
	v_div_scale_f32 v8, s[26:27], v12, v12, v13
	v_div_scale_f32 v14, vcc, v13, v12, v13
	v_add_u32_e32 v7, 1, v7
	v_rcp_f32_e32 v25, v8
	v_fma_f32 v26, -v8, v25, 1.0
	v_fmac_f32_e32 v25, v26, v25
	v_mul_f32_e32 v26, v14, v25
	v_fma_f32 v27, -v8, v26, v14
	v_fmac_f32_e32 v26, v27, v25
	v_fma_f32 v8, -v8, v26, v14
	v_div_fmas_f32 v14, v8, v25, v26
	v_add_u32_e32 v8, v17, v11
	v_cmp_lt_i32_e32 vcc, v8, v24
	v_div_fixup_f32 v25, v14, v12, v13
	global_store_dword v[9:10], v25, off
	s_and_saveexec_b64 s[26:27], vcc
	s_cbranch_execz .LBB12_11
; %bb.18:                               ;   in Loop: Header=BB12_13 Depth=1
	s_mov_b64 s[28:29], 0
	v_mov_b32_e32 v10, v7
	s_branch .LBB12_20
.LBB12_19:                              ;   in Loop: Header=BB12_20 Depth=2
	s_or_b64 exec, exec, s[30:31]
	v_add_u32_e32 v8, 64, v8
	v_cmp_ge_i32_e32 vcc, v8, v24
	s_or_b64 s[28:29], vcc, s[28:29]
	s_andn2_b64 exec, exec, s[28:29]
	s_cbranch_execz .LBB12_11
.LBB12_20:                              ;   Parent Loop BB12_13 Depth=1
                                        ; =>  This Loop Header: Depth=2
                                        ;       Child Loop BB12_22 Depth 3
	v_add_u32_e32 v13, v10, v22
	v_ashrrev_i32_e32 v9, 31, v8
	v_lshlrev_b64 v[11:12], 2, v[8:9]
	v_ashrrev_i32_e32 v13, 1, v13
	v_ashrrev_i32_e32 v14, 31, v13
	v_mov_b32_e32 v9, s11
	v_add_co_u32_e32 v26, vcc, s10, v11
	v_lshlrev_b64 v[28:29], 2, v[13:14]
	v_addc_co_u32_e32 v27, vcc, v9, v12, vcc
	v_add_co_u32_e32 v28, vcc, s10, v28
	v_addc_co_u32_e32 v29, vcc, v9, v29, vcc
	global_load_dword v9, v[26:27], off
	global_load_dword v14, v[28:29], off
	v_cmp_lt_i32_e32 vcc, v10, v22
	s_and_saveexec_b64 s[30:31], vcc
	s_cbranch_execz .LBB12_24
; %bb.21:                               ;   in Loop: Header=BB12_20 Depth=2
	s_mov_b64 s[36:37], 0
	v_mov_b32_e32 v26, v22
.LBB12_22:                              ;   Parent Loop BB12_13 Depth=1
                                        ;     Parent Loop BB12_20 Depth=2
                                        ; =>    This Inner Loop Header: Depth=3
	v_add_u32_e32 v27, 1, v13
	s_waitcnt vmcnt(0)
	v_cmp_lt_i32_e32 vcc, v14, v9
	v_cndmask_b32_e32 v26, v13, v26, vcc
	v_cndmask_b32_e32 v10, v10, v27, vcc
	v_add_u32_e32 v13, v26, v10
	v_ashrrev_i32_e32 v13, 1, v13
	v_ashrrev_i32_e32 v14, 31, v13
	v_lshlrev_b64 v[27:28], 2, v[13:14]
	v_mov_b32_e32 v14, s11
	v_add_co_u32_e32 v27, vcc, s10, v27
	v_addc_co_u32_e32 v28, vcc, v14, v28, vcc
	global_load_dword v14, v[27:28], off
	v_cmp_ge_i32_e32 vcc, v10, v26
	s_or_b64 s[36:37], vcc, s[36:37]
	s_andn2_b64 exec, exec, s[36:37]
	s_cbranch_execnz .LBB12_22
; %bb.23:                               ;   in Loop: Header=BB12_20 Depth=2
	s_or_b64 exec, exec, s[36:37]
.LBB12_24:                              ;   in Loop: Header=BB12_20 Depth=2
	s_or_b64 exec, exec, s[30:31]
	s_waitcnt vmcnt(0)
	v_cmp_eq_u32_e32 vcc, v14, v9
	s_and_saveexec_b64 s[30:31], vcc
	s_cbranch_execz .LBB12_19
; %bb.25:                               ;   in Loop: Header=BB12_20 Depth=2
	v_mov_b32_e32 v9, s13
	v_add_co_u32_e32 v13, vcc, s12, v11
	v_ashrrev_i32_e32 v11, 31, v10
	v_addc_co_u32_e32 v14, vcc, v9, v12, vcc
	v_lshlrev_b64 v[11:12], 2, v[10:11]
	v_add_co_u32_e32 v11, vcc, s12, v11
	v_addc_co_u32_e32 v12, vcc, v9, v12, vcc
	global_load_dword v9, v[13:14], off
	global_load_dword v26, v[11:12], off
	s_waitcnt vmcnt(0)
	v_fma_f32 v9, -v25, v9, v26
	global_store_dword v[11:12], v9, off
	s_branch .LBB12_19
.LBB12_26:
	s_or_b64 exec, exec, s[0:1]
	v_cmp_lt_i32_e32 vcc, -1, v6
	s_and_saveexec_b64 s[6:7], vcc
	s_cbranch_execz .LBB12_42
; %bb.27:
	v_mov_b32_e32 v7, 0
	v_lshlrev_b64 v[6:7], 2, v[6:7]
	v_mov_b32_e32 v9, s13
	v_add_co_u32_e32 v8, vcc, s12, v6
	v_addc_co_u32_e32 v9, vcc, v9, v7, vcc
	global_load_dword v10, v[8:9], off
	v_cmp_eq_u32_e64 s[0:1], 0, v0
	s_mov_b64 s[8:9], -1
	s_waitcnt vmcnt(0)
	v_cmp_gt_f32_e32 vcc, 0, v10
	v_cndmask_b32_e64 v6, v10, -v10, vcc
	v_cvt_f64_f32_e32 v[6:7], v6
	s_andn2_b64 vcc, exec, s[34:35]
	s_cbranch_vccnz .LBB12_31
; %bb.28:
	v_cvt_f64_f32_e32 v[11:12], v15
	s_cmp_eq_u64 s[24:25], 8
	s_cselect_b64 vcc, -1, 0
	v_cndmask_b32_e32 v4, v12, v4, vcc
	v_cndmask_b32_e32 v3, v11, v3, vcc
	v_cmp_ge_f64_e32 vcc, v[3:4], v[6:7]
	s_and_b64 s[10:11], s[0:1], vcc
	s_and_saveexec_b64 s[8:9], s[10:11]
	s_cbranch_execz .LBB12_30
; %bb.29:
	global_store_dword v[8:9], v16, off
.LBB12_30:
	s_or_b64 exec, exec, s[8:9]
	s_mov_b64 s[8:9], 0
.LBB12_31:
	s_andn2_b64 vcc, exec, s[8:9]
	s_cbranch_vccnz .LBB12_42
; %bb.32:
	s_load_dwordx2 s[4:5], s[4:5], 0x48
	v_add_u32_e32 v3, s2, v5
	s_waitcnt lgkmcnt(0)
	v_cmp_ge_f64_e32 vcc, s[4:5], v[6:7]
	s_and_b64 s[4:5], s[0:1], vcc
	s_and_saveexec_b64 s[2:3], s[4:5]
	s_cbranch_execz .LBB12_37
; %bb.33:
	s_mov_b64 s[4:5], exec
	s_brev_b32 s8, -2
.LBB12_34:                              ; =>This Inner Loop Header: Depth=1
	s_ff1_i32_b64 s9, s[4:5]
	v_readlane_b32 s12, v3, s9
	s_lshl_b64 s[10:11], 1, s9
	s_min_i32 s8, s8, s12
	s_andn2_b64 s[4:5], s[4:5], s[10:11]
	s_cmp_lg_u64 s[4:5], 0
	s_cbranch_scc1 .LBB12_34
; %bb.35:
	v_mbcnt_lo_u32_b32 v4, exec_lo, 0
	v_mbcnt_hi_u32_b32 v4, exec_hi, v4
	v_cmp_eq_u32_e32 vcc, 0, v4
	s_and_saveexec_b64 s[4:5], vcc
	s_xor_b64 s[4:5], exec, s[4:5]
	s_cbranch_execz .LBB12_37
; %bb.36:
	v_mov_b32_e32 v4, 0
	v_mov_b32_e32 v5, s8
	global_atomic_smin v4, v5, s[22:23]
.LBB12_37:
	s_or_b64 exec, exec, s[2:3]
	v_cmp_eq_f32_e32 vcc, 0, v10
	s_and_b64 s[0:1], s[0:1], vcc
	s_and_b64 exec, exec, s[0:1]
	s_cbranch_execz .LBB12_42
; %bb.38:
	s_mov_b64 s[0:1], exec
	s_brev_b32 s2, -2
.LBB12_39:                              ; =>This Inner Loop Header: Depth=1
	s_ff1_i32_b64 s3, s[0:1]
	v_readlane_b32 s8, v3, s3
	s_lshl_b64 s[4:5], 1, s3
	s_min_i32 s2, s2, s8
	s_andn2_b64 s[0:1], s[0:1], s[4:5]
	s_cmp_lg_u64 s[0:1], 0
	s_cbranch_scc1 .LBB12_39
; %bb.40:
	v_mbcnt_lo_u32_b32 v3, exec_lo, 0
	v_mbcnt_hi_u32_b32 v3, exec_hi, v3
	v_cmp_eq_u32_e32 vcc, 0, v3
	s_and_saveexec_b64 s[0:1], vcc
	s_xor_b64 s[0:1], exec, s[0:1]
	s_cbranch_execz .LBB12_42
; %bb.41:
	v_mov_b32_e32 v3, 0
	v_mov_b32_e32 v4, s2
	global_atomic_smin v3, v4, s[20:21]
.LBB12_42:
	s_or_b64 exec, exec, s[6:7]
	v_cmp_eq_u32_e32 vcc, 0, v0
	s_waitcnt vmcnt(0)
	buffer_wbinvl1_vol
	s_and_b64 exec, exec, vcc
	s_cbranch_execz .LBB12_44
; %bb.43:
	v_mov_b32_e32 v3, s17
	v_add_co_u32_e32 v0, vcc, s16, v1
	v_addc_co_u32_e32 v1, vcc, v3, v2, vcc
	v_mov_b32_e32 v2, 1
	global_store_dword v[0:1], v2, off
.LBB12_44:
	s_endpgm
	.section	.rodata,"a",@progbits
	.p2align	6, 0x0
	.amdhsa_kernel _ZN9rocsparseL17csrilu0_binsearchILj256ELj64ELb0EfEEviPKiS2_PT2_S2_PiS2_S5_S5_d21rocsparse_index_base_imNS_24const_host_device_scalarIfEENS7_IdEENS7_IS3_EEb
		.amdhsa_group_segment_fixed_size 0
		.amdhsa_private_segment_fixed_size 0
		.amdhsa_kernarg_size 124
		.amdhsa_user_sgpr_count 6
		.amdhsa_user_sgpr_private_segment_buffer 1
		.amdhsa_user_sgpr_dispatch_ptr 0
		.amdhsa_user_sgpr_queue_ptr 0
		.amdhsa_user_sgpr_kernarg_segment_ptr 1
		.amdhsa_user_sgpr_dispatch_id 0
		.amdhsa_user_sgpr_flat_scratch_init 0
		.amdhsa_user_sgpr_private_segment_size 0
		.amdhsa_uses_dynamic_stack 0
		.amdhsa_system_sgpr_private_segment_wavefront_offset 0
		.amdhsa_system_sgpr_workgroup_id_x 1
		.amdhsa_system_sgpr_workgroup_id_y 0
		.amdhsa_system_sgpr_workgroup_id_z 0
		.amdhsa_system_sgpr_workgroup_info 0
		.amdhsa_system_vgpr_workitem_id 0
		.amdhsa_next_free_vgpr 30
		.amdhsa_next_free_sgpr 38
		.amdhsa_reserve_vcc 1
		.amdhsa_reserve_flat_scratch 0
		.amdhsa_float_round_mode_32 0
		.amdhsa_float_round_mode_16_64 0
		.amdhsa_float_denorm_mode_32 3
		.amdhsa_float_denorm_mode_16_64 3
		.amdhsa_dx10_clamp 1
		.amdhsa_ieee_mode 1
		.amdhsa_fp16_overflow 0
		.amdhsa_exception_fp_ieee_invalid_op 0
		.amdhsa_exception_fp_denorm_src 0
		.amdhsa_exception_fp_ieee_div_zero 0
		.amdhsa_exception_fp_ieee_overflow 0
		.amdhsa_exception_fp_ieee_underflow 0
		.amdhsa_exception_fp_ieee_inexact 0
		.amdhsa_exception_int_div_zero 0
	.end_amdhsa_kernel
	.section	.text._ZN9rocsparseL17csrilu0_binsearchILj256ELj64ELb0EfEEviPKiS2_PT2_S2_PiS2_S5_S5_d21rocsparse_index_base_imNS_24const_host_device_scalarIfEENS7_IdEENS7_IS3_EEb,"axG",@progbits,_ZN9rocsparseL17csrilu0_binsearchILj256ELj64ELb0EfEEviPKiS2_PT2_S2_PiS2_S5_S5_d21rocsparse_index_base_imNS_24const_host_device_scalarIfEENS7_IdEENS7_IS3_EEb,comdat
.Lfunc_end12:
	.size	_ZN9rocsparseL17csrilu0_binsearchILj256ELj64ELb0EfEEviPKiS2_PT2_S2_PiS2_S5_S5_d21rocsparse_index_base_imNS_24const_host_device_scalarIfEENS7_IdEENS7_IS3_EEb, .Lfunc_end12-_ZN9rocsparseL17csrilu0_binsearchILj256ELj64ELb0EfEEviPKiS2_PT2_S2_PiS2_S5_S5_d21rocsparse_index_base_imNS_24const_host_device_scalarIfEENS7_IdEENS7_IS3_EEb
                                        ; -- End function
	.set _ZN9rocsparseL17csrilu0_binsearchILj256ELj64ELb0EfEEviPKiS2_PT2_S2_PiS2_S5_S5_d21rocsparse_index_base_imNS_24const_host_device_scalarIfEENS7_IdEENS7_IS3_EEb.num_vgpr, 30
	.set _ZN9rocsparseL17csrilu0_binsearchILj256ELj64ELb0EfEEviPKiS2_PT2_S2_PiS2_S5_S5_d21rocsparse_index_base_imNS_24const_host_device_scalarIfEENS7_IdEENS7_IS3_EEb.num_agpr, 0
	.set _ZN9rocsparseL17csrilu0_binsearchILj256ELj64ELb0EfEEviPKiS2_PT2_S2_PiS2_S5_S5_d21rocsparse_index_base_imNS_24const_host_device_scalarIfEENS7_IdEENS7_IS3_EEb.numbered_sgpr, 38
	.set _ZN9rocsparseL17csrilu0_binsearchILj256ELj64ELb0EfEEviPKiS2_PT2_S2_PiS2_S5_S5_d21rocsparse_index_base_imNS_24const_host_device_scalarIfEENS7_IdEENS7_IS3_EEb.num_named_barrier, 0
	.set _ZN9rocsparseL17csrilu0_binsearchILj256ELj64ELb0EfEEviPKiS2_PT2_S2_PiS2_S5_S5_d21rocsparse_index_base_imNS_24const_host_device_scalarIfEENS7_IdEENS7_IS3_EEb.private_seg_size, 0
	.set _ZN9rocsparseL17csrilu0_binsearchILj256ELj64ELb0EfEEviPKiS2_PT2_S2_PiS2_S5_S5_d21rocsparse_index_base_imNS_24const_host_device_scalarIfEENS7_IdEENS7_IS3_EEb.uses_vcc, 1
	.set _ZN9rocsparseL17csrilu0_binsearchILj256ELj64ELb0EfEEviPKiS2_PT2_S2_PiS2_S5_S5_d21rocsparse_index_base_imNS_24const_host_device_scalarIfEENS7_IdEENS7_IS3_EEb.uses_flat_scratch, 0
	.set _ZN9rocsparseL17csrilu0_binsearchILj256ELj64ELb0EfEEviPKiS2_PT2_S2_PiS2_S5_S5_d21rocsparse_index_base_imNS_24const_host_device_scalarIfEENS7_IdEENS7_IS3_EEb.has_dyn_sized_stack, 0
	.set _ZN9rocsparseL17csrilu0_binsearchILj256ELj64ELb0EfEEviPKiS2_PT2_S2_PiS2_S5_S5_d21rocsparse_index_base_imNS_24const_host_device_scalarIfEENS7_IdEENS7_IS3_EEb.has_recursion, 0
	.set _ZN9rocsparseL17csrilu0_binsearchILj256ELj64ELb0EfEEviPKiS2_PT2_S2_PiS2_S5_S5_d21rocsparse_index_base_imNS_24const_host_device_scalarIfEENS7_IdEENS7_IS3_EEb.has_indirect_call, 0
	.section	.AMDGPU.csdata,"",@progbits
; Kernel info:
; codeLenInByte = 1512
; TotalNumSgprs: 42
; NumVgprs: 30
; ScratchSize: 0
; MemoryBound: 0
; FloatMode: 240
; IeeeMode: 1
; LDSByteSize: 0 bytes/workgroup (compile time only)
; SGPRBlocks: 5
; VGPRBlocks: 7
; NumSGPRsForWavesPerEU: 42
; NumVGPRsForWavesPerEU: 30
; Occupancy: 8
; WaveLimiterHint : 1
; COMPUTE_PGM_RSRC2:SCRATCH_EN: 0
; COMPUTE_PGM_RSRC2:USER_SGPR: 6
; COMPUTE_PGM_RSRC2:TRAP_HANDLER: 0
; COMPUTE_PGM_RSRC2:TGID_X_EN: 1
; COMPUTE_PGM_RSRC2:TGID_Y_EN: 0
; COMPUTE_PGM_RSRC2:TGID_Z_EN: 0
; COMPUTE_PGM_RSRC2:TIDIG_COMP_CNT: 0
	.section	.text._ZN9rocsparseL17csrilu0_binsearchILj256ELj64ELb1EdEEviPKiS2_PT2_S2_PiS2_S5_S5_d21rocsparse_index_base_imNS_24const_host_device_scalarIfEENS7_IdEENS7_IS3_EEb,"axG",@progbits,_ZN9rocsparseL17csrilu0_binsearchILj256ELj64ELb1EdEEviPKiS2_PT2_S2_PiS2_S5_S5_d21rocsparse_index_base_imNS_24const_host_device_scalarIfEENS7_IdEENS7_IS3_EEb,comdat
	.globl	_ZN9rocsparseL17csrilu0_binsearchILj256ELj64ELb1EdEEviPKiS2_PT2_S2_PiS2_S5_S5_d21rocsparse_index_base_imNS_24const_host_device_scalarIfEENS7_IdEENS7_IS3_EEb ; -- Begin function _ZN9rocsparseL17csrilu0_binsearchILj256ELj64ELb1EdEEviPKiS2_PT2_S2_PiS2_S5_S5_d21rocsparse_index_base_imNS_24const_host_device_scalarIfEENS7_IdEENS7_IS3_EEb
	.p2align	8
	.type	_ZN9rocsparseL17csrilu0_binsearchILj256ELj64ELb1EdEEviPKiS2_PT2_S2_PiS2_S5_S5_d21rocsparse_index_base_imNS_24const_host_device_scalarIfEENS7_IdEENS7_IS3_EEb,@function
_ZN9rocsparseL17csrilu0_binsearchILj256ELj64ELb1EdEEviPKiS2_PT2_S2_PiS2_S5_S5_d21rocsparse_index_base_imNS_24const_host_device_scalarIfEENS7_IdEENS7_IS3_EEb: ; @_ZN9rocsparseL17csrilu0_binsearchILj256ELj64ELb1EdEEviPKiS2_PT2_S2_PiS2_S5_S5_d21rocsparse_index_base_imNS_24const_host_device_scalarIfEENS7_IdEENS7_IS3_EEb
; %bb.0:
	s_load_dword s0, s[4:5], 0x78
	s_load_dwordx2 s[34:35], s[4:5], 0x50
	s_load_dwordx8 s[24:31], s[4:5], 0x58
	s_waitcnt lgkmcnt(0)
	s_bitcmp1_b32 s0, 0
	s_cselect_b64 s[0:1], -1, 0
	s_cmp_eq_u32 s35, 0
	s_cselect_b64 s[8:9], -1, 0
	s_cmp_lg_u32 s35, 0
	s_cselect_b64 s[2:3], -1, 0
	s_or_b64 s[0:1], s[8:9], s[0:1]
	s_xor_b64 s[10:11], s[0:1], -1
	s_and_b64 s[12:13], s[8:9], exec
	s_cselect_b32 s13, 0, s29
	s_cselect_b32 s12, 0, s28
	s_and_b64 vcc, exec, s[0:1]
	s_cbranch_vccnz .LBB13_2
; %bb.1:
	s_load_dword s0, s[26:27], 0x0
	s_mov_b64 s[12:13], s[28:29]
	s_waitcnt lgkmcnt(0)
	v_mov_b32_e32 v18, s0
	s_branch .LBB13_3
.LBB13_2:
	v_mov_b32_e32 v1, s26
	v_cndmask_b32_e64 v18, v1, 0, s[8:9]
.LBB13_3:
	v_cndmask_b32_e64 v1, 0, 1, s[10:11]
	v_mov_b32_e32 v3, s12
	v_cmp_ne_u32_e64 s[0:1], 1, v1
	s_andn2_b64 vcc, exec, s[10:11]
	v_mov_b32_e32 v4, s13
	s_cbranch_vccnz .LBB13_5
; %bb.4:
	v_mov_b32_e32 v1, s28
	v_mov_b32_e32 v2, s29
	flat_load_dwordx2 v[3:4], v[1:2]
.LBB13_5:
	s_and_b64 s[8:9], s[8:9], exec
	s_cselect_b32 s8, 0, s30
	s_cselect_b32 s9, 0, s31
	v_mov_b32_e32 v5, s8
	s_and_b64 vcc, exec, s[0:1]
	v_mov_b32_e32 v6, s9
	s_cbranch_vccnz .LBB13_7
; %bb.6:
	v_mov_b32_e32 v1, s30
	v_mov_b32_e32 v2, s31
	flat_load_dwordx2 v[5:6], v[1:2]
.LBB13_7:
	s_load_dword s0, s[4:5], 0x0
	s_lshl_b32 s1, s6, 2
	v_lshrrev_b32_e32 v1, 6, v0
	s_and_b32 s1, s1, 0x3fffffc
	v_or_b32_e32 v1, s1, v1
	s_waitcnt lgkmcnt(0)
	v_cmp_gt_i32_e32 vcc, s0, v1
	s_and_saveexec_b64 s[0:1], vcc
	s_cbranch_execz .LBB13_45
; %bb.8:
	s_load_dwordx16 s[8:23], s[4:5], 0x8
	v_lshlrev_b32_e32 v1, 2, v1
	v_and_b32_e32 v0, 63, v0
	s_waitcnt lgkmcnt(0)
	global_load_dword v7, v1, s[18:19]
	v_mov_b32_e32 v9, s15
	v_mov_b32_e32 v11, s9
	s_waitcnt vmcnt(0)
	v_ashrrev_i32_e32 v8, 31, v7
	v_lshlrev_b64 v[1:2], 2, v[7:8]
	v_add_co_u32_e32 v12, vcc, s14, v1
	v_addc_co_u32_e32 v13, vcc, v9, v2, vcc
	v_add_co_u32_e32 v10, vcc, s8, v1
	v_addc_co_u32_e32 v11, vcc, v11, v2, vcc
	global_load_dword v9, v[10:11], off
	global_load_dword v8, v[12:13], off
	s_waitcnt vmcnt(1)
	v_subrev_u32_e32 v9, s34, v9
	s_waitcnt vmcnt(0)
	v_cmp_lt_i32_e32 vcc, v9, v8
	s_and_saveexec_b64 s[0:1], vcc
	s_cbranch_execz .LBB13_27
; %bb.9:
	global_load_dword v10, v[10:11], off offset:4
	v_add_u32_e32 v19, 1, v0
	s_mov_b64 s[6:7], 0
	v_mov_b32_e32 v20, s11
	v_mov_b32_e32 v21, s13
	;; [unrolled: 1-line block ×5, first 2 shown]
	s_waitcnt vmcnt(0)
	v_xad_u32 v24, s34, -1, v10
	s_branch .LBB13_12
.LBB13_10:                              ;   in Loop: Header=BB13_12 Depth=1
	s_or_b64 exec, exec, s[26:27]
	v_cmp_ge_i32_e32 vcc, v9, v8
	s_orn2_b64 s[26:27], vcc, exec
.LBB13_11:                              ;   in Loop: Header=BB13_12 Depth=1
	s_or_b64 exec, exec, s[18:19]
	s_and_b64 s[18:19], exec, s[26:27]
	s_or_b64 s[6:7], s[18:19], s[6:7]
	s_andn2_b64 exec, exec, s[6:7]
	s_cbranch_execz .LBB13_27
.LBB13_12:                              ; =>This Loop Header: Depth=1
                                        ;     Child Loop BB13_15 Depth 2
                                        ;       Child Loop BB13_16 Depth 3
                                        ;     Child Loop BB13_21 Depth 2
                                        ;       Child Loop BB13_23 Depth 3
	v_ashrrev_i32_e32 v10, 31, v9
	v_lshlrev_b64 v[11:12], 2, v[9:10]
	v_add_co_u32_e32 v11, vcc, s10, v11
	v_addc_co_u32_e32 v12, vcc, v20, v12, vcc
	global_load_dword v12, v[11:12], off
	v_lshlrev_b64 v[10:11], 3, v[9:10]
	v_add_co_u32_e32 v13, vcc, s12, v10
	v_addc_co_u32_e32 v14, vcc, v21, v11, vcc
	global_load_dwordx2 v[10:11], v[13:14], off
	s_waitcnt vmcnt(1)
	v_subrev_u32_e32 v15, s34, v12
	v_ashrrev_i32_e32 v16, 31, v15
	v_lshlrev_b64 v[15:16], 2, v[15:16]
	v_add_co_u32_e32 v26, vcc, s8, v15
	v_addc_co_u32_e32 v27, vcc, v22, v16, vcc
	v_add_co_u32_e32 v28, vcc, s14, v15
	v_addc_co_u32_e32 v29, vcc, v23, v16, vcc
	;; [unrolled: 2-line block ×3, first 2 shown]
	global_load_dword v17, v[26:27], off offset:4
	global_load_dword v12, v[28:29], off
	global_load_dword v30, v[15:16], off glc
	s_waitcnt vmcnt(0)
	v_cmp_eq_u32_e32 vcc, 0, v30
	s_and_saveexec_b64 s[18:19], vcc
	s_cbranch_execz .LBB13_17
; %bb.13:                               ;   in Loop: Header=BB13_12 Depth=1
	s_mov_b32 s9, 0
	s_mov_b64 s[26:27], 0
	s_branch .LBB13_15
.LBB13_14:                              ;   in Loop: Header=BB13_15 Depth=2
	global_load_dword v26, v[15:16], off glc
	s_cmpk_lt_u32 s9, 0xf43
	s_cselect_b64 s[28:29], -1, 0
	s_cmp_lg_u64 s[28:29], 0
	s_addc_u32 s9, s9, 0
	s_waitcnt vmcnt(0)
	v_cmp_ne_u32_e32 vcc, 0, v26
	s_or_b64 s[26:27], vcc, s[26:27]
	s_andn2_b64 exec, exec, s[26:27]
	s_cbranch_execz .LBB13_17
.LBB13_15:                              ;   Parent Loop BB13_12 Depth=1
                                        ; =>  This Loop Header: Depth=2
                                        ;       Child Loop BB13_16 Depth 3
	s_cmp_eq_u32 s9, 0
	s_mov_b32 s15, s9
	s_cbranch_scc1 .LBB13_14
.LBB13_16:                              ;   Parent Loop BB13_12 Depth=1
                                        ;     Parent Loop BB13_15 Depth=2
                                        ; =>    This Inner Loop Header: Depth=3
	s_add_i32 s15, s15, -1
	s_cmp_eq_u32 s15, 0
	s_sleep 1
	s_cbranch_scc0 .LBB13_16
	s_branch .LBB13_14
.LBB13_17:                              ;   in Loop: Header=BB13_12 Depth=1
	s_or_b64 exec, exec, s[18:19]
	v_subrev_u32_e32 v26, s34, v17
	v_add_u32_e32 v15, -1, v26
	v_cmp_eq_u32_e32 vcc, -1, v12
	v_cndmask_b32_e32 v15, v12, v15, vcc
	v_ashrrev_i32_e32 v16, 31, v15
	v_lshlrev_b64 v[16:17], 3, v[15:16]
	v_mov_b32_e32 v12, s13
	v_add_co_u32_e32 v16, vcc, s12, v16
	v_addc_co_u32_e32 v17, vcc, v12, v17, vcc
	buffer_wbinvl1_vol
	global_load_dwordx2 v[16:17], v[16:17], off
	s_mov_b64 s[26:27], -1
	s_waitcnt vmcnt(0)
	v_cmp_neq_f64_e32 vcc, 0, v[16:17]
	s_and_saveexec_b64 s[18:19], vcc
	s_xor_b64 s[18:19], exec, s[18:19]
	s_cbranch_execz .LBB13_11
; %bb.18:                               ;   in Loop: Header=BB13_12 Depth=1
	v_div_scale_f64 v[27:28], s[26:27], v[16:17], v[16:17], v[10:11]
	v_add_u32_e32 v12, v19, v15
	v_add_u32_e32 v9, 1, v9
	v_rcp_f64_e32 v[29:30], v[27:28]
	v_fma_f64 v[31:32], -v[27:28], v[29:30], 1.0
	v_fma_f64 v[29:30], v[29:30], v[31:32], v[29:30]
	v_div_scale_f64 v[31:32], vcc, v[10:11], v[16:17], v[10:11]
	v_fma_f64 v[33:34], -v[27:28], v[29:30], 1.0
	v_fma_f64 v[29:30], v[29:30], v[33:34], v[29:30]
	v_mul_f64 v[33:34], v[31:32], v[29:30]
	v_fma_f64 v[27:28], -v[27:28], v[33:34], v[31:32]
	v_div_fmas_f64 v[27:28], v[27:28], v[29:30], v[33:34]
	v_cmp_lt_i32_e32 vcc, v12, v26
	v_div_fixup_f64 v[10:11], v[27:28], v[16:17], v[10:11]
	global_store_dwordx2 v[13:14], v[10:11], off
	s_and_saveexec_b64 s[26:27], vcc
	s_cbranch_execz .LBB13_10
; %bb.19:                               ;   in Loop: Header=BB13_12 Depth=1
	s_mov_b64 s[28:29], 0
	v_mov_b32_e32 v14, v9
	s_branch .LBB13_21
.LBB13_20:                              ;   in Loop: Header=BB13_21 Depth=2
	s_or_b64 exec, exec, s[30:31]
	v_add_u32_e32 v12, 64, v12
	v_cmp_ge_i32_e32 vcc, v12, v26
	s_or_b64 s[28:29], vcc, s[28:29]
	s_andn2_b64 exec, exec, s[28:29]
	s_cbranch_execz .LBB13_10
.LBB13_21:                              ;   Parent Loop BB13_12 Depth=1
                                        ; =>  This Loop Header: Depth=2
                                        ;       Child Loop BB13_23 Depth 3
	v_ashrrev_i32_e32 v13, 31, v12
	v_lshlrev_b64 v[15:16], 2, v[12:13]
	v_add_u32_e32 v17, v14, v24
	v_mov_b32_e32 v30, s11
	v_add_co_u32_e32 v27, vcc, s10, v15
	v_ashrrev_i32_e32 v15, 1, v17
	v_addc_co_u32_e32 v28, vcc, v30, v16, vcc
	v_ashrrev_i32_e32 v16, 31, v15
	v_lshlrev_b64 v[16:17], 2, v[15:16]
	v_add_co_u32_e32 v29, vcc, s10, v16
	v_addc_co_u32_e32 v30, vcc, v30, v17, vcc
	global_load_dword v17, v[27:28], off
	global_load_dword v16, v[29:30], off
	v_cmp_lt_i32_e32 vcc, v14, v24
	s_and_saveexec_b64 s[30:31], vcc
	s_cbranch_execz .LBB13_25
; %bb.22:                               ;   in Loop: Header=BB13_21 Depth=2
	s_mov_b64 s[36:37], 0
	v_mov_b32_e32 v27, v24
.LBB13_23:                              ;   Parent Loop BB13_12 Depth=1
                                        ;     Parent Loop BB13_21 Depth=2
                                        ; =>    This Inner Loop Header: Depth=3
	v_add_u32_e32 v28, 1, v15
	s_waitcnt vmcnt(0)
	v_cmp_lt_i32_e32 vcc, v16, v17
	v_cndmask_b32_e32 v27, v15, v27, vcc
	v_cndmask_b32_e32 v14, v14, v28, vcc
	v_add_u32_e32 v15, v27, v14
	v_ashrrev_i32_e32 v15, 1, v15
	v_ashrrev_i32_e32 v16, 31, v15
	v_lshlrev_b64 v[28:29], 2, v[15:16]
	v_mov_b32_e32 v16, s11
	v_add_co_u32_e32 v28, vcc, s10, v28
	v_addc_co_u32_e32 v29, vcc, v16, v29, vcc
	global_load_dword v16, v[28:29], off
	v_cmp_ge_i32_e32 vcc, v14, v27
	s_or_b64 s[36:37], vcc, s[36:37]
	s_andn2_b64 exec, exec, s[36:37]
	s_cbranch_execnz .LBB13_23
; %bb.24:                               ;   in Loop: Header=BB13_21 Depth=2
	s_or_b64 exec, exec, s[36:37]
.LBB13_25:                              ;   in Loop: Header=BB13_21 Depth=2
	s_or_b64 exec, exec, s[30:31]
	s_waitcnt vmcnt(0)
	v_cmp_eq_u32_e32 vcc, v16, v17
	s_and_saveexec_b64 s[30:31], vcc
	s_cbranch_execz .LBB13_20
; %bb.26:                               ;   in Loop: Header=BB13_21 Depth=2
	v_lshlrev_b64 v[15:16], 3, v[12:13]
	v_mov_b32_e32 v13, s13
	v_add_co_u32_e32 v27, vcc, s12, v15
	v_ashrrev_i32_e32 v15, 31, v14
	v_addc_co_u32_e32 v28, vcc, v13, v16, vcc
	v_lshlrev_b64 v[15:16], 3, v[14:15]
	v_add_co_u32_e32 v15, vcc, s12, v15
	v_addc_co_u32_e32 v16, vcc, v13, v16, vcc
	global_load_dwordx2 v[29:30], v[27:28], off
	global_load_dwordx2 v[31:32], v[15:16], off
	s_waitcnt vmcnt(0)
	v_fma_f64 v[27:28], -v[10:11], v[29:30], v[31:32]
	global_store_dwordx2 v[15:16], v[27:28], off
	s_branch .LBB13_20
.LBB13_27:
	s_or_b64 exec, exec, s[0:1]
	v_cmp_lt_i32_e32 vcc, -1, v8
	s_and_saveexec_b64 s[6:7], vcc
	s_cbranch_execz .LBB13_43
; %bb.28:
	v_mov_b32_e32 v9, 0
	v_lshlrev_b64 v[8:9], 3, v[8:9]
	v_mov_b32_e32 v11, s13
	v_add_co_u32_e32 v10, vcc, s12, v8
	v_addc_co_u32_e32 v11, vcc, v11, v9, vcc
	global_load_dwordx2 v[8:9], v[10:11], off
	s_andn2_b64 vcc, exec, s[2:3]
	v_cmp_eq_u32_e64 s[0:1], 0, v0
	s_waitcnt vmcnt(0)
	v_cmp_gt_f64_e64 s[2:3], 0, v[8:9]
	v_xor_b32_e32 v13, 0x80000000, v9
	v_mov_b32_e32 v12, v8
	v_cndmask_b32_e64 v13, v9, v13, s[2:3]
	s_mov_b64 s[2:3], -1
	s_cbranch_vccnz .LBB13_32
; %bb.29:
	v_cvt_f64_f32_e32 v[14:15], v18
	s_cmp_eq_u64 s[24:25], 8
	s_cselect_b64 vcc, -1, 0
	v_cndmask_b32_e32 v4, v15, v4, vcc
	v_cndmask_b32_e32 v3, v14, v3, vcc
	v_cmp_le_f64_e32 vcc, v[12:13], v[3:4]
	s_and_b64 s[8:9], s[0:1], vcc
	s_and_saveexec_b64 s[2:3], s[8:9]
	s_cbranch_execz .LBB13_31
; %bb.30:
	global_store_dwordx2 v[10:11], v[5:6], off
.LBB13_31:
	s_or_b64 exec, exec, s[2:3]
	s_mov_b64 s[2:3], 0
.LBB13_32:
	s_andn2_b64 vcc, exec, s[2:3]
	s_cbranch_vccnz .LBB13_43
; %bb.33:
	s_load_dwordx2 s[2:3], s[4:5], 0x48
	v_add_u32_e32 v3, s34, v7
	s_waitcnt lgkmcnt(0)
	v_cmp_ge_f64_e32 vcc, s[2:3], v[12:13]
	s_and_b64 s[4:5], s[0:1], vcc
	s_and_saveexec_b64 s[2:3], s[4:5]
	s_cbranch_execz .LBB13_38
; %bb.34:
	s_mov_b64 s[4:5], exec
	s_brev_b32 s8, -2
.LBB13_35:                              ; =>This Inner Loop Header: Depth=1
	s_ff1_i32_b64 s9, s[4:5]
	v_readlane_b32 s12, v3, s9
	s_lshl_b64 s[10:11], 1, s9
	s_min_i32 s8, s8, s12
	s_andn2_b64 s[4:5], s[4:5], s[10:11]
	s_cmp_lg_u64 s[4:5], 0
	s_cbranch_scc1 .LBB13_35
; %bb.36:
	v_mbcnt_lo_u32_b32 v4, exec_lo, 0
	v_mbcnt_hi_u32_b32 v4, exec_hi, v4
	v_cmp_eq_u32_e32 vcc, 0, v4
	s_and_saveexec_b64 s[4:5], vcc
	s_xor_b64 s[4:5], exec, s[4:5]
	s_cbranch_execz .LBB13_38
; %bb.37:
	v_mov_b32_e32 v4, 0
	v_mov_b32_e32 v5, s8
	global_atomic_smin v4, v5, s[22:23]
.LBB13_38:
	s_or_b64 exec, exec, s[2:3]
	v_cmp_eq_f64_e32 vcc, 0, v[8:9]
	s_and_b64 s[0:1], s[0:1], vcc
	s_and_b64 exec, exec, s[0:1]
	s_cbranch_execz .LBB13_43
; %bb.39:
	s_mov_b64 s[0:1], exec
	s_brev_b32 s2, -2
.LBB13_40:                              ; =>This Inner Loop Header: Depth=1
	s_ff1_i32_b64 s3, s[0:1]
	v_readlane_b32 s8, v3, s3
	s_lshl_b64 s[4:5], 1, s3
	s_min_i32 s2, s2, s8
	s_andn2_b64 s[0:1], s[0:1], s[4:5]
	s_cmp_lg_u64 s[0:1], 0
	s_cbranch_scc1 .LBB13_40
; %bb.41:
	v_mbcnt_lo_u32_b32 v3, exec_lo, 0
	v_mbcnt_hi_u32_b32 v3, exec_hi, v3
	v_cmp_eq_u32_e32 vcc, 0, v3
	s_and_saveexec_b64 s[0:1], vcc
	s_xor_b64 s[0:1], exec, s[0:1]
	s_cbranch_execz .LBB13_43
; %bb.42:
	v_mov_b32_e32 v3, 0
	v_mov_b32_e32 v4, s2
	global_atomic_smin v3, v4, s[20:21]
.LBB13_43:
	s_or_b64 exec, exec, s[6:7]
	v_cmp_eq_u32_e32 vcc, 0, v0
	s_waitcnt vmcnt(0)
	buffer_wbinvl1_vol
	s_and_b64 exec, exec, vcc
	s_cbranch_execz .LBB13_45
; %bb.44:
	v_mov_b32_e32 v3, s17
	v_add_co_u32_e32 v0, vcc, s16, v1
	v_addc_co_u32_e32 v1, vcc, v3, v2, vcc
	v_mov_b32_e32 v2, 1
	global_store_dword v[0:1], v2, off
.LBB13_45:
	s_endpgm
	.section	.rodata,"a",@progbits
	.p2align	6, 0x0
	.amdhsa_kernel _ZN9rocsparseL17csrilu0_binsearchILj256ELj64ELb1EdEEviPKiS2_PT2_S2_PiS2_S5_S5_d21rocsparse_index_base_imNS_24const_host_device_scalarIfEENS7_IdEENS7_IS3_EEb
		.amdhsa_group_segment_fixed_size 0
		.amdhsa_private_segment_fixed_size 0
		.amdhsa_kernarg_size 124
		.amdhsa_user_sgpr_count 6
		.amdhsa_user_sgpr_private_segment_buffer 1
		.amdhsa_user_sgpr_dispatch_ptr 0
		.amdhsa_user_sgpr_queue_ptr 0
		.amdhsa_user_sgpr_kernarg_segment_ptr 1
		.amdhsa_user_sgpr_dispatch_id 0
		.amdhsa_user_sgpr_flat_scratch_init 0
		.amdhsa_user_sgpr_private_segment_size 0
		.amdhsa_uses_dynamic_stack 0
		.amdhsa_system_sgpr_private_segment_wavefront_offset 0
		.amdhsa_system_sgpr_workgroup_id_x 1
		.amdhsa_system_sgpr_workgroup_id_y 0
		.amdhsa_system_sgpr_workgroup_id_z 0
		.amdhsa_system_sgpr_workgroup_info 0
		.amdhsa_system_vgpr_workitem_id 0
		.amdhsa_next_free_vgpr 35
		.amdhsa_next_free_sgpr 38
		.amdhsa_reserve_vcc 1
		.amdhsa_reserve_flat_scratch 0
		.amdhsa_float_round_mode_32 0
		.amdhsa_float_round_mode_16_64 0
		.amdhsa_float_denorm_mode_32 3
		.amdhsa_float_denorm_mode_16_64 3
		.amdhsa_dx10_clamp 1
		.amdhsa_ieee_mode 1
		.amdhsa_fp16_overflow 0
		.amdhsa_exception_fp_ieee_invalid_op 0
		.amdhsa_exception_fp_denorm_src 0
		.amdhsa_exception_fp_ieee_div_zero 0
		.amdhsa_exception_fp_ieee_overflow 0
		.amdhsa_exception_fp_ieee_underflow 0
		.amdhsa_exception_fp_ieee_inexact 0
		.amdhsa_exception_int_div_zero 0
	.end_amdhsa_kernel
	.section	.text._ZN9rocsparseL17csrilu0_binsearchILj256ELj64ELb1EdEEviPKiS2_PT2_S2_PiS2_S5_S5_d21rocsparse_index_base_imNS_24const_host_device_scalarIfEENS7_IdEENS7_IS3_EEb,"axG",@progbits,_ZN9rocsparseL17csrilu0_binsearchILj256ELj64ELb1EdEEviPKiS2_PT2_S2_PiS2_S5_S5_d21rocsparse_index_base_imNS_24const_host_device_scalarIfEENS7_IdEENS7_IS3_EEb,comdat
.Lfunc_end13:
	.size	_ZN9rocsparseL17csrilu0_binsearchILj256ELj64ELb1EdEEviPKiS2_PT2_S2_PiS2_S5_S5_d21rocsparse_index_base_imNS_24const_host_device_scalarIfEENS7_IdEENS7_IS3_EEb, .Lfunc_end13-_ZN9rocsparseL17csrilu0_binsearchILj256ELj64ELb1EdEEviPKiS2_PT2_S2_PiS2_S5_S5_d21rocsparse_index_base_imNS_24const_host_device_scalarIfEENS7_IdEENS7_IS3_EEb
                                        ; -- End function
	.set _ZN9rocsparseL17csrilu0_binsearchILj256ELj64ELb1EdEEviPKiS2_PT2_S2_PiS2_S5_S5_d21rocsparse_index_base_imNS_24const_host_device_scalarIfEENS7_IdEENS7_IS3_EEb.num_vgpr, 35
	.set _ZN9rocsparseL17csrilu0_binsearchILj256ELj64ELb1EdEEviPKiS2_PT2_S2_PiS2_S5_S5_d21rocsparse_index_base_imNS_24const_host_device_scalarIfEENS7_IdEENS7_IS3_EEb.num_agpr, 0
	.set _ZN9rocsparseL17csrilu0_binsearchILj256ELj64ELb1EdEEviPKiS2_PT2_S2_PiS2_S5_S5_d21rocsparse_index_base_imNS_24const_host_device_scalarIfEENS7_IdEENS7_IS3_EEb.numbered_sgpr, 38
	.set _ZN9rocsparseL17csrilu0_binsearchILj256ELj64ELb1EdEEviPKiS2_PT2_S2_PiS2_S5_S5_d21rocsparse_index_base_imNS_24const_host_device_scalarIfEENS7_IdEENS7_IS3_EEb.num_named_barrier, 0
	.set _ZN9rocsparseL17csrilu0_binsearchILj256ELj64ELb1EdEEviPKiS2_PT2_S2_PiS2_S5_S5_d21rocsparse_index_base_imNS_24const_host_device_scalarIfEENS7_IdEENS7_IS3_EEb.private_seg_size, 0
	.set _ZN9rocsparseL17csrilu0_binsearchILj256ELj64ELb1EdEEviPKiS2_PT2_S2_PiS2_S5_S5_d21rocsparse_index_base_imNS_24const_host_device_scalarIfEENS7_IdEENS7_IS3_EEb.uses_vcc, 1
	.set _ZN9rocsparseL17csrilu0_binsearchILj256ELj64ELb1EdEEviPKiS2_PT2_S2_PiS2_S5_S5_d21rocsparse_index_base_imNS_24const_host_device_scalarIfEENS7_IdEENS7_IS3_EEb.uses_flat_scratch, 0
	.set _ZN9rocsparseL17csrilu0_binsearchILj256ELj64ELb1EdEEviPKiS2_PT2_S2_PiS2_S5_S5_d21rocsparse_index_base_imNS_24const_host_device_scalarIfEENS7_IdEENS7_IS3_EEb.has_dyn_sized_stack, 0
	.set _ZN9rocsparseL17csrilu0_binsearchILj256ELj64ELb1EdEEviPKiS2_PT2_S2_PiS2_S5_S5_d21rocsparse_index_base_imNS_24const_host_device_scalarIfEENS7_IdEENS7_IS3_EEb.has_recursion, 0
	.set _ZN9rocsparseL17csrilu0_binsearchILj256ELj64ELb1EdEEviPKiS2_PT2_S2_PiS2_S5_S5_d21rocsparse_index_base_imNS_24const_host_device_scalarIfEENS7_IdEENS7_IS3_EEb.has_indirect_call, 0
	.section	.AMDGPU.csdata,"",@progbits
; Kernel info:
; codeLenInByte = 1612
; TotalNumSgprs: 42
; NumVgprs: 35
; ScratchSize: 0
; MemoryBound: 0
; FloatMode: 240
; IeeeMode: 1
; LDSByteSize: 0 bytes/workgroup (compile time only)
; SGPRBlocks: 5
; VGPRBlocks: 8
; NumSGPRsForWavesPerEU: 42
; NumVGPRsForWavesPerEU: 35
; Occupancy: 7
; WaveLimiterHint : 1
; COMPUTE_PGM_RSRC2:SCRATCH_EN: 0
; COMPUTE_PGM_RSRC2:USER_SGPR: 6
; COMPUTE_PGM_RSRC2:TRAP_HANDLER: 0
; COMPUTE_PGM_RSRC2:TGID_X_EN: 1
; COMPUTE_PGM_RSRC2:TGID_Y_EN: 0
; COMPUTE_PGM_RSRC2:TGID_Z_EN: 0
; COMPUTE_PGM_RSRC2:TIDIG_COMP_CNT: 0
	.section	.text._ZN9rocsparseL12csrilu0_hashILj256ELj32ELj1EdEEviPKiS2_PT2_S2_PiS2_S5_S5_d21rocsparse_index_base_imNS_24const_host_device_scalarIfEENS7_IdEENS7_IS3_EEb,"axG",@progbits,_ZN9rocsparseL12csrilu0_hashILj256ELj32ELj1EdEEviPKiS2_PT2_S2_PiS2_S5_S5_d21rocsparse_index_base_imNS_24const_host_device_scalarIfEENS7_IdEENS7_IS3_EEb,comdat
	.globl	_ZN9rocsparseL12csrilu0_hashILj256ELj32ELj1EdEEviPKiS2_PT2_S2_PiS2_S5_S5_d21rocsparse_index_base_imNS_24const_host_device_scalarIfEENS7_IdEENS7_IS3_EEb ; -- Begin function _ZN9rocsparseL12csrilu0_hashILj256ELj32ELj1EdEEviPKiS2_PT2_S2_PiS2_S5_S5_d21rocsparse_index_base_imNS_24const_host_device_scalarIfEENS7_IdEENS7_IS3_EEb
	.p2align	8
	.type	_ZN9rocsparseL12csrilu0_hashILj256ELj32ELj1EdEEviPKiS2_PT2_S2_PiS2_S5_S5_d21rocsparse_index_base_imNS_24const_host_device_scalarIfEENS7_IdEENS7_IS3_EEb,@function
_ZN9rocsparseL12csrilu0_hashILj256ELj32ELj1EdEEviPKiS2_PT2_S2_PiS2_S5_S5_d21rocsparse_index_base_imNS_24const_host_device_scalarIfEENS7_IdEENS7_IS3_EEb: ; @_ZN9rocsparseL12csrilu0_hashILj256ELj32ELj1EdEEviPKiS2_PT2_S2_PiS2_S5_S5_d21rocsparse_index_base_imNS_24const_host_device_scalarIfEENS7_IdEENS7_IS3_EEb
; %bb.0:
	s_load_dword s0, s[4:5], 0x78
	s_load_dwordx2 s[34:35], s[4:5], 0x50
	s_load_dwordx8 s[24:31], s[4:5], 0x58
	s_waitcnt lgkmcnt(0)
	s_bitcmp1_b32 s0, 0
	s_cselect_b64 s[0:1], -1, 0
	s_cmp_eq_u32 s35, 0
	s_cselect_b64 s[8:9], -1, 0
	s_cmp_lg_u32 s35, 0
	s_cselect_b64 s[2:3], -1, 0
	s_or_b64 s[0:1], s[8:9], s[0:1]
	s_xor_b64 s[10:11], s[0:1], -1
	s_and_b64 s[12:13], s[8:9], exec
	s_cselect_b32 s13, 0, s29
	s_cselect_b32 s12, 0, s28
	s_and_b64 vcc, exec, s[0:1]
	s_cbranch_vccnz .LBB14_2
; %bb.1:
	s_load_dword s0, s[26:27], 0x0
	s_mov_b64 s[12:13], s[28:29]
	s_waitcnt lgkmcnt(0)
	v_mov_b32_e32 v18, s0
	s_branch .LBB14_3
.LBB14_2:
	v_mov_b32_e32 v1, s26
	v_cndmask_b32_e64 v18, v1, 0, s[8:9]
.LBB14_3:
	v_cndmask_b32_e64 v1, 0, 1, s[10:11]
	v_mov_b32_e32 v2, s12
	v_cmp_ne_u32_e64 s[0:1], 1, v1
	s_andn2_b64 vcc, exec, s[10:11]
	v_mov_b32_e32 v3, s13
	s_cbranch_vccnz .LBB14_5
; %bb.4:
	v_mov_b32_e32 v1, s28
	v_mov_b32_e32 v2, s29
	flat_load_dwordx2 v[2:3], v[1:2]
.LBB14_5:
	s_and_b64 s[8:9], s[8:9], exec
	s_cselect_b32 s8, 0, s30
	s_cselect_b32 s9, 0, s31
	v_mov_b32_e32 v4, s8
	s_and_b64 vcc, exec, s[0:1]
	v_mov_b32_e32 v5, s9
	s_cbranch_vccnz .LBB14_7
; %bb.6:
	v_mov_b32_e32 v4, s30
	v_mov_b32_e32 v5, s31
	flat_load_dwordx2 v[4:5], v[4:5]
.LBB14_7:
	s_load_dword s0, s[4:5], 0x0
	s_lshl_b32 s1, s6, 3
	v_and_b32_e32 v17, 31, v0
	v_and_b32_e32 v8, 0xe0, v0
	v_mov_b32_e32 v1, 0x400
	v_lshrrev_b32_e32 v0, 5, v0
	s_and_b32 s1, s1, 0x7fffff8
	v_lshl_or_b32 v19, v8, 2, v1
	v_or_b32_e32 v0, s1, v0
	v_lshl_or_b32 v1, v17, 2, v19
	v_mov_b32_e32 v6, -1
	s_waitcnt lgkmcnt(0)
	v_cmp_gt_i32_e32 vcc, s0, v0
	ds_write_b32 v1, v6
	s_waitcnt lgkmcnt(0)
	s_and_saveexec_b64 s[0:1], vcc
	s_cbranch_execz .LBB14_79
; %bb.8:
	s_load_dwordx16 s[8:23], s[4:5], 0x8
	v_lshlrev_b32_e32 v0, 2, v0
	v_lshlrev_b32_e32 v20, 2, v8
	s_waitcnt lgkmcnt(0)
	global_load_dword v6, v0, s[18:19]
	v_mov_b32_e32 v10, s9
	v_mov_b32_e32 v12, s15
	s_waitcnt vmcnt(0)
	v_ashrrev_i32_e32 v7, 31, v6
	v_lshlrev_b64 v[0:1], 2, v[6:7]
	v_add_co_u32_e32 v9, vcc, s8, v0
	v_addc_co_u32_e32 v10, vcc, v10, v1, vcc
	global_load_dwordx2 v[9:10], v[9:10], off
	v_add_co_u32_e32 v11, vcc, s14, v0
	v_addc_co_u32_e32 v12, vcc, v12, v1, vcc
	global_load_dword v7, v[11:12], off
	s_waitcnt vmcnt(1)
	v_subrev_u32_e32 v8, s34, v9
	v_subrev_u32_e32 v11, s34, v10
	v_add_u32_e32 v9, v8, v17
	v_cmp_lt_i32_e32 vcc, v9, v11
	s_and_saveexec_b64 s[0:1], vcc
	s_cbranch_execz .LBB14_31
; %bb.9:
	s_mov_b64 s[6:7], 0
	v_mov_b32_e32 v12, s11
	v_mov_b32_e32 v13, -1
	s_branch .LBB14_11
.LBB14_10:                              ;   in Loop: Header=BB14_11 Depth=1
	s_or_b64 exec, exec, s[18:19]
	v_add_u32_e32 v9, 32, v9
	v_cmp_ge_i32_e32 vcc, v9, v11
	s_or_b64 s[6:7], vcc, s[6:7]
	s_andn2_b64 exec, exec, s[6:7]
	s_cbranch_execz .LBB14_31
.LBB14_11:                              ; =>This Loop Header: Depth=1
                                        ;     Child Loop BB14_20 Depth 2
	v_ashrrev_i32_e32 v10, 31, v9
	v_lshlrev_b64 v[14:15], 2, v[9:10]
	s_mov_b64 s[26:27], 0
	v_add_co_u32_e32 v14, vcc, s10, v14
	v_addc_co_u32_e32 v15, vcc, v12, v15, vcc
	global_load_dword v10, v[14:15], off
	v_mov_b32_e32 v14, 32
                                        ; implicit-def: $sgpr18_sgpr19
                                        ; implicit-def: $sgpr28_sgpr29
                                        ; implicit-def: $sgpr30_sgpr31
	s_waitcnt vmcnt(0)
	v_mul_lo_u32 v16, v10, 7
	s_branch .LBB14_20
.LBB14_12:                              ;   in Loop: Header=BB14_20 Depth=2
	s_or_b64 exec, exec, s[54:55]
	s_orn2_b64 s[50:51], s[50:51], exec
	s_orn2_b64 s[52:53], s[52:53], exec
.LBB14_13:                              ;   in Loop: Header=BB14_20 Depth=2
	s_or_b64 exec, exec, s[48:49]
	s_and_b64 s[50:51], s[50:51], exec
	s_orn2_b64 s[48:49], s[52:53], exec
.LBB14_14:                              ;   in Loop: Header=BB14_20 Depth=2
	s_or_b64 exec, exec, s[46:47]
	s_orn2_b64 s[50:51], s[50:51], exec
	s_orn2_b64 s[46:47], s[48:49], exec
.LBB14_15:                              ;   in Loop: Header=BB14_20 Depth=2
	s_or_b64 exec, exec, s[44:45]
	s_and_b64 s[48:49], s[50:51], exec
	s_orn2_b64 s[44:45], s[46:47], exec
.LBB14_16:                              ;   in Loop: Header=BB14_20 Depth=2
	s_or_b64 exec, exec, s[42:43]
	s_orn2_b64 s[42:43], s[48:49], exec
	s_orn2_b64 s[44:45], s[44:45], exec
.LBB14_17:                              ;   in Loop: Header=BB14_20 Depth=2
	s_or_b64 exec, exec, s[40:41]
	s_and_b64 s[42:43], s[42:43], exec
	s_orn2_b64 s[40:41], s[44:45], exec
.LBB14_18:                              ;   in Loop: Header=BB14_20 Depth=2
	s_or_b64 exec, exec, s[38:39]
	s_andn2_b64 s[30:31], s[30:31], exec
	s_and_b64 s[38:39], s[42:43], exec
	s_or_b64 s[30:31], s[30:31], s[38:39]
	s_andn2_b64 s[28:29], s[28:29], exec
	s_and_b64 s[38:39], s[40:41], exec
	s_or_b64 s[28:29], s[28:29], s[38:39]
.LBB14_19:                              ;   in Loop: Header=BB14_20 Depth=2
	s_or_b64 exec, exec, s[36:37]
	s_and_b64 s[36:37], exec, s[28:29]
	s_or_b64 s[26:27], s[36:37], s[26:27]
	s_andn2_b64 s[18:19], s[18:19], exec
	s_and_b64 s[36:37], s[30:31], exec
	s_or_b64 s[18:19], s[18:19], s[36:37]
	s_andn2_b64 exec, exec, s[26:27]
	s_cbranch_execz .LBB14_29
.LBB14_20:                              ;   Parent Loop BB14_11 Depth=1
                                        ; =>  This Inner Loop Header: Depth=2
	v_and_b32_e32 v15, 31, v16
	v_lshl_add_u32 v21, v15, 2, v19
	ds_read_b32 v22, v21
	s_or_b64 s[30:31], s[30:31], exec
	s_or_b64 s[28:29], s[28:29], exec
	s_waitcnt lgkmcnt(0)
	v_cmp_ne_u32_e32 vcc, v22, v10
	s_and_saveexec_b64 s[36:37], vcc
	s_cbranch_execz .LBB14_19
; %bb.21:                               ;   in Loop: Header=BB14_20 Depth=2
	ds_cmpst_rtn_b32 v21, v21, v13, v10
	s_mov_b64 s[40:41], -1
	s_mov_b64 s[42:43], 0
	s_waitcnt lgkmcnt(0)
	v_cmp_ne_u32_e32 vcc, -1, v21
	s_and_saveexec_b64 s[38:39], vcc
	s_cbranch_execz .LBB14_18
; %bb.22:                               ;   in Loop: Header=BB14_20 Depth=2
	v_add_u32_e32 v15, 1, v16
	v_and_b32_e32 v15, 31, v15
	v_lshl_add_u32 v21, v15, 2, v19
	ds_read_b32 v22, v21
	s_mov_b64 s[44:45], -1
	s_mov_b64 s[42:43], -1
	s_waitcnt lgkmcnt(0)
	v_cmp_ne_u32_e32 vcc, v22, v10
	s_and_saveexec_b64 s[40:41], vcc
	s_cbranch_execz .LBB14_17
; %bb.23:                               ;   in Loop: Header=BB14_20 Depth=2
	ds_cmpst_rtn_b32 v21, v21, v13, v10
	s_mov_b64 s[48:49], 0
	s_waitcnt lgkmcnt(0)
	v_cmp_ne_u32_e32 vcc, -1, v21
	s_and_saveexec_b64 s[42:43], vcc
	s_cbranch_execz .LBB14_16
; %bb.24:                               ;   in Loop: Header=BB14_20 Depth=2
	v_add_u32_e32 v15, 2, v16
	v_and_b32_e32 v15, 31, v15
	v_lshl_add_u32 v21, v15, 2, v19
	ds_read_b32 v22, v21
	s_mov_b64 s[46:47], -1
	s_mov_b64 s[50:51], -1
	s_waitcnt lgkmcnt(0)
	v_cmp_ne_u32_e32 vcc, v22, v10
	s_and_saveexec_b64 s[44:45], vcc
	s_cbranch_execz .LBB14_15
; %bb.25:                               ;   in Loop: Header=BB14_20 Depth=2
	ds_cmpst_rtn_b32 v21, v21, v13, v10
	s_mov_b64 s[48:49], -1
	s_mov_b64 s[50:51], 0
	s_waitcnt lgkmcnt(0)
	v_cmp_ne_u32_e32 vcc, -1, v21
	s_and_saveexec_b64 s[46:47], vcc
	s_cbranch_execz .LBB14_14
; %bb.26:                               ;   in Loop: Header=BB14_20 Depth=2
	v_add_u32_e32 v15, 3, v16
	v_and_b32_e32 v15, 31, v15
	v_lshl_add_u32 v21, v15, 2, v19
	ds_read_b32 v16, v21
	s_mov_b64 s[52:53], -1
	s_mov_b64 s[50:51], -1
	s_waitcnt lgkmcnt(0)
	v_cmp_ne_u32_e32 vcc, v16, v10
                                        ; implicit-def: $vgpr16
	s_and_saveexec_b64 s[48:49], vcc
	s_cbranch_execz .LBB14_13
; %bb.27:                               ;   in Loop: Header=BB14_20 Depth=2
	ds_cmpst_rtn_b32 v16, v21, v13, v10
	s_mov_b64 s[50:51], 0
	s_waitcnt lgkmcnt(0)
	v_cmp_ne_u32_e32 vcc, -1, v16
                                        ; implicit-def: $vgpr16
	s_and_saveexec_b64 s[54:55], vcc
	s_cbranch_execz .LBB14_12
; %bb.28:                               ;   in Loop: Header=BB14_20 Depth=2
	v_add_u32_e32 v14, -4, v14
	v_cmp_eq_u32_e32 vcc, 0, v14
	s_mov_b64 s[50:51], exec
	v_add_u32_e32 v16, 1, v15
	s_orn2_b64 s[52:53], vcc, exec
	s_branch .LBB14_12
.LBB14_29:                              ;   in Loop: Header=BB14_11 Depth=1
	s_or_b64 exec, exec, s[26:27]
	s_xor_b64 s[18:19], s[18:19], -1
	s_and_saveexec_b64 s[26:27], s[18:19]
	s_xor_b64 s[18:19], exec, s[26:27]
	s_cbranch_execz .LBB14_10
; %bb.30:                               ;   in Loop: Header=BB14_11 Depth=1
	v_lshl_add_u32 v10, v15, 2, v20
	ds_write_b32 v10, v9
	s_branch .LBB14_10
.LBB14_31:
	s_or_b64 exec, exec, s[0:1]
	s_waitcnt vmcnt(0)
	v_cmp_lt_i32_e32 vcc, v8, v7
	s_waitcnt lgkmcnt(0)
	s_and_saveexec_b64 s[0:1], vcc
	s_cbranch_execz .LBB14_61
; %bb.32:
	s_mov_b64 s[6:7], 0
	v_mov_b32_e32 v21, s11
	v_mov_b32_e32 v22, s13
	;; [unrolled: 1-line block ×5, first 2 shown]
	s_branch .LBB14_35
.LBB14_33:                              ;   in Loop: Header=BB14_35 Depth=1
	s_or_b64 exec, exec, s[26:27]
	v_add_u32_e32 v8, 1, v8
	v_cmp_ge_i32_e32 vcc, v8, v7
	s_orn2_b64 s[26:27], vcc, exec
.LBB14_34:                              ;   in Loop: Header=BB14_35 Depth=1
	s_or_b64 exec, exec, s[18:19]
	s_and_b64 s[18:19], exec, s[26:27]
	s_or_b64 s[6:7], s[18:19], s[6:7]
	s_andn2_b64 exec, exec, s[6:7]
	s_cbranch_execz .LBB14_61
.LBB14_35:                              ; =>This Loop Header: Depth=1
                                        ;     Child Loop BB14_36 Depth 2
                                        ;     Child Loop BB14_41 Depth 2
                                        ;       Child Loop BB14_50 Depth 3
	v_ashrrev_i32_e32 v9, 31, v8
	v_lshlrev_b64 v[10:11], 2, v[8:9]
	s_mov_b64 s[18:19], 0
	v_add_co_u32_e32 v10, vcc, s10, v10
	v_addc_co_u32_e32 v11, vcc, v21, v11, vcc
	global_load_dword v11, v[10:11], off
	v_lshlrev_b64 v[9:10], 3, v[8:9]
	v_add_co_u32_e32 v12, vcc, s12, v9
	v_addc_co_u32_e32 v13, vcc, v22, v10, vcc
	global_load_dwordx2 v[9:10], v[12:13], off
	s_waitcnt vmcnt(1)
	v_subrev_u32_e32 v14, s34, v11
	v_ashrrev_i32_e32 v15, 31, v14
	v_lshlrev_b64 v[14:15], 2, v[14:15]
	v_add_co_u32_e32 v26, vcc, s8, v14
	v_addc_co_u32_e32 v27, vcc, v23, v15, vcc
	v_add_co_u32_e32 v28, vcc, s14, v14
	v_addc_co_u32_e32 v29, vcc, v24, v15, vcc
	global_load_dword v11, v[26:27], off offset:4
	global_load_dword v16, v[28:29], off
	v_add_co_u32_e32 v14, vcc, s16, v14
	v_addc_co_u32_e32 v15, vcc, v25, v15, vcc
.LBB14_36:                              ;   Parent Loop BB14_35 Depth=1
                                        ; =>  This Inner Loop Header: Depth=2
	global_load_dword v26, v[14:15], off glc
	s_waitcnt vmcnt(0)
	v_cmp_ne_u32_e32 vcc, 0, v26
	s_or_b64 s[18:19], vcc, s[18:19]
	s_andn2_b64 exec, exec, s[18:19]
	s_cbranch_execnz .LBB14_36
; %bb.37:                               ;   in Loop: Header=BB14_35 Depth=1
	s_or_b64 exec, exec, s[18:19]
	v_subrev_u32_e32 v26, s34, v11
	v_add_u32_e32 v11, -1, v26
	v_cmp_eq_u32_e32 vcc, -1, v16
	v_cndmask_b32_e32 v14, v16, v11, vcc
	v_ashrrev_i32_e32 v15, 31, v14
	v_lshlrev_b64 v[15:16], 3, v[14:15]
	buffer_wbinvl1_vol
	v_add_co_u32_e32 v15, vcc, s12, v15
	v_addc_co_u32_e32 v16, vcc, v22, v16, vcc
	global_load_dwordx2 v[15:16], v[15:16], off
	s_mov_b64 s[26:27], -1
	s_waitcnt vmcnt(0)
	v_cmp_neq_f64_e32 vcc, 0, v[15:16]
	s_and_saveexec_b64 s[18:19], vcc
	s_cbranch_execz .LBB14_34
; %bb.38:                               ;   in Loop: Header=BB14_35 Depth=1
	v_div_scale_f64 v[27:28], s[26:27], v[15:16], v[15:16], v[9:10]
	v_add_u32_e32 v11, 1, v17
	v_add_u32_e32 v11, v11, v14
	v_rcp_f64_e32 v[29:30], v[27:28]
	v_fma_f64 v[31:32], -v[27:28], v[29:30], 1.0
	v_fma_f64 v[29:30], v[29:30], v[31:32], v[29:30]
	v_div_scale_f64 v[31:32], vcc, v[9:10], v[15:16], v[9:10]
	v_fma_f64 v[33:34], -v[27:28], v[29:30], 1.0
	v_fma_f64 v[29:30], v[29:30], v[33:34], v[29:30]
	v_mul_f64 v[33:34], v[31:32], v[29:30]
	v_fma_f64 v[27:28], -v[27:28], v[33:34], v[31:32]
	v_div_fmas_f64 v[27:28], v[27:28], v[29:30], v[33:34]
	v_cmp_lt_i32_e32 vcc, v11, v26
	v_div_fixup_f64 v[9:10], v[27:28], v[15:16], v[9:10]
	global_store_dwordx2 v[12:13], v[9:10], off
	s_and_saveexec_b64 s[26:27], vcc
	s_cbranch_execz .LBB14_33
; %bb.39:                               ;   in Loop: Header=BB14_35 Depth=1
	s_mov_b64 s[28:29], 0
	s_branch .LBB14_41
.LBB14_40:                              ;   in Loop: Header=BB14_41 Depth=2
	s_or_b64 exec, exec, s[30:31]
	v_add_u32_e32 v11, 32, v11
	v_cmp_ge_i32_e32 vcc, v11, v26
	s_or_b64 s[28:29], vcc, s[28:29]
	s_andn2_b64 exec, exec, s[28:29]
	s_cbranch_execz .LBB14_33
.LBB14_41:                              ;   Parent Loop BB14_35 Depth=1
                                        ; =>  This Loop Header: Depth=2
                                        ;       Child Loop BB14_50 Depth 3
	v_ashrrev_i32_e32 v12, 31, v11
	v_lshlrev_b64 v[13:14], 2, v[11:12]
	v_mov_b32_e32 v15, s11
	v_add_co_u32_e32 v13, vcc, s10, v13
	v_addc_co_u32_e32 v14, vcc, v15, v14, vcc
	global_load_dword v13, v[13:14], off
	v_mov_b32_e32 v14, 32
	s_mov_b64 s[36:37], 0
                                        ; implicit-def: $sgpr30_sgpr31
                                        ; implicit-def: $sgpr38_sgpr39
                                        ; implicit-def: $sgpr40_sgpr41
	s_waitcnt vmcnt(0)
	v_mul_lo_u32 v16, v13, 7
	s_branch .LBB14_50
.LBB14_42:                              ;   in Loop: Header=BB14_50 Depth=3
	s_or_b64 exec, exec, s[60:61]
	s_orn2_b64 s[56:57], s[56:57], exec
	s_orn2_b64 s[58:59], s[58:59], exec
.LBB14_43:                              ;   in Loop: Header=BB14_50 Depth=3
	s_or_b64 exec, exec, s[54:55]
	s_and_b64 s[56:57], s[56:57], exec
	s_orn2_b64 s[54:55], s[58:59], exec
.LBB14_44:                              ;   in Loop: Header=BB14_50 Depth=3
	s_or_b64 exec, exec, s[52:53]
	s_orn2_b64 s[56:57], s[56:57], exec
	s_orn2_b64 s[52:53], s[54:55], exec
.LBB14_45:                              ;   in Loop: Header=BB14_50 Depth=3
	s_or_b64 exec, exec, s[50:51]
	s_and_b64 s[54:55], s[56:57], exec
	s_orn2_b64 s[50:51], s[52:53], exec
.LBB14_46:                              ;   in Loop: Header=BB14_50 Depth=3
	s_or_b64 exec, exec, s[48:49]
	s_orn2_b64 s[48:49], s[54:55], exec
	s_orn2_b64 s[50:51], s[50:51], exec
.LBB14_47:                              ;   in Loop: Header=BB14_50 Depth=3
	s_or_b64 exec, exec, s[46:47]
	s_and_b64 s[48:49], s[48:49], exec
	s_orn2_b64 s[46:47], s[50:51], exec
.LBB14_48:                              ;   in Loop: Header=BB14_50 Depth=3
	s_or_b64 exec, exec, s[44:45]
	s_andn2_b64 s[40:41], s[40:41], exec
	s_and_b64 s[44:45], s[48:49], exec
	s_or_b64 s[40:41], s[40:41], s[44:45]
	s_andn2_b64 s[38:39], s[38:39], exec
	s_and_b64 s[44:45], s[46:47], exec
	s_or_b64 s[38:39], s[38:39], s[44:45]
.LBB14_49:                              ;   in Loop: Header=BB14_50 Depth=3
	s_or_b64 exec, exec, s[42:43]
	s_and_b64 s[42:43], exec, s[38:39]
	s_or_b64 s[36:37], s[42:43], s[36:37]
	s_andn2_b64 s[30:31], s[30:31], exec
	s_and_b64 s[42:43], s[40:41], exec
	s_or_b64 s[30:31], s[30:31], s[42:43]
	s_andn2_b64 exec, exec, s[36:37]
	s_cbranch_execz .LBB14_59
.LBB14_50:                              ;   Parent Loop BB14_35 Depth=1
                                        ;     Parent Loop BB14_41 Depth=2
                                        ; =>    This Inner Loop Header: Depth=3
	v_and_b32_e32 v15, 31, v16
	v_lshl_add_u32 v27, v15, 2, v19
	ds_read_b32 v27, v27
	s_or_b64 s[40:41], s[40:41], exec
	s_or_b64 s[38:39], s[38:39], exec
	s_waitcnt lgkmcnt(0)
	v_cmp_ne_u32_e32 vcc, -1, v27
	s_and_saveexec_b64 s[42:43], vcc
	s_cbranch_execz .LBB14_49
; %bb.51:                               ;   in Loop: Header=BB14_50 Depth=3
	v_cmp_ne_u32_e32 vcc, v27, v13
	s_mov_b64 s[46:47], -1
	s_mov_b64 s[48:49], 0
	s_and_saveexec_b64 s[44:45], vcc
	s_cbranch_execz .LBB14_48
; %bb.52:                               ;   in Loop: Header=BB14_50 Depth=3
	v_add_u32_e32 v15, 1, v16
	v_and_b32_e32 v15, 31, v15
	v_lshl_add_u32 v27, v15, 2, v19
	ds_read_b32 v27, v27
	s_mov_b64 s[50:51], -1
	s_mov_b64 s[48:49], -1
	s_waitcnt lgkmcnt(0)
	v_cmp_ne_u32_e32 vcc, -1, v27
	s_and_saveexec_b64 s[46:47], vcc
	s_cbranch_execz .LBB14_47
; %bb.53:                               ;   in Loop: Header=BB14_50 Depth=3
	v_cmp_ne_u32_e32 vcc, v27, v13
	s_mov_b64 s[54:55], 0
	s_and_saveexec_b64 s[48:49], vcc
	s_cbranch_execz .LBB14_46
; %bb.54:                               ;   in Loop: Header=BB14_50 Depth=3
	v_add_u32_e32 v15, 2, v16
	v_and_b32_e32 v15, 31, v15
	v_lshl_add_u32 v27, v15, 2, v19
	ds_read_b32 v27, v27
	s_mov_b64 s[52:53], -1
	s_mov_b64 s[56:57], -1
	s_waitcnt lgkmcnt(0)
	v_cmp_ne_u32_e32 vcc, -1, v27
	s_and_saveexec_b64 s[50:51], vcc
	s_cbranch_execz .LBB14_45
; %bb.55:                               ;   in Loop: Header=BB14_50 Depth=3
	v_cmp_ne_u32_e32 vcc, v27, v13
	s_mov_b64 s[54:55], -1
	s_mov_b64 s[56:57], 0
	s_and_saveexec_b64 s[52:53], vcc
	s_cbranch_execz .LBB14_44
; %bb.56:                               ;   in Loop: Header=BB14_50 Depth=3
	v_add_u32_e32 v15, 3, v16
	v_and_b32_e32 v15, 31, v15
	v_lshl_add_u32 v16, v15, 2, v19
	ds_read_b32 v27, v16
	s_mov_b64 s[58:59], -1
	s_mov_b64 s[56:57], -1
                                        ; implicit-def: $vgpr16
	s_waitcnt lgkmcnt(0)
	v_cmp_ne_u32_e32 vcc, -1, v27
	s_and_saveexec_b64 s[54:55], vcc
	s_cbranch_execz .LBB14_43
; %bb.57:                               ;   in Loop: Header=BB14_50 Depth=3
	v_cmp_ne_u32_e32 vcc, v27, v13
	s_mov_b64 s[56:57], 0
                                        ; implicit-def: $vgpr16
	s_and_saveexec_b64 s[60:61], vcc
	s_cbranch_execz .LBB14_42
; %bb.58:                               ;   in Loop: Header=BB14_50 Depth=3
	v_add_u32_e32 v14, -4, v14
	v_cmp_eq_u32_e32 vcc, 0, v14
	s_mov_b64 s[56:57], exec
	v_add_u32_e32 v16, 1, v15
	s_orn2_b64 s[58:59], vcc, exec
	s_branch .LBB14_42
.LBB14_59:                              ;   in Loop: Header=BB14_41 Depth=2
	s_or_b64 exec, exec, s[36:37]
	s_xor_b64 s[30:31], s[30:31], -1
	s_and_saveexec_b64 s[36:37], s[30:31]
	s_xor_b64 s[30:31], exec, s[36:37]
	s_cbranch_execz .LBB14_40
; %bb.60:                               ;   in Loop: Header=BB14_41 Depth=2
	v_lshl_add_u32 v13, v15, 2, v20
	ds_read_b32 v13, v13
	v_lshlrev_b64 v[15:16], 3, v[11:12]
	v_mov_b32_e32 v27, s13
	v_add_co_u32_e32 v15, vcc, s12, v15
	s_waitcnt lgkmcnt(0)
	v_ashrrev_i32_e32 v14, 31, v13
	v_lshlrev_b64 v[12:13], 3, v[13:14]
	v_addc_co_u32_e32 v16, vcc, v27, v16, vcc
	v_add_co_u32_e32 v12, vcc, s12, v12
	v_addc_co_u32_e32 v13, vcc, v27, v13, vcc
	global_load_dwordx2 v[27:28], v[15:16], off
	global_load_dwordx2 v[29:30], v[12:13], off
	s_waitcnt vmcnt(0)
	v_fma_f64 v[14:15], -v[9:10], v[27:28], v[29:30]
	global_store_dwordx2 v[12:13], v[14:15], off
	s_branch .LBB14_40
.LBB14_61:
	s_or_b64 exec, exec, s[0:1]
	v_cmp_lt_i32_e32 vcc, -1, v7
	s_and_saveexec_b64 s[6:7], vcc
	s_cbranch_execz .LBB14_77
; %bb.62:
	v_mov_b32_e32 v8, 0
	v_lshlrev_b64 v[7:8], 3, v[7:8]
	v_mov_b32_e32 v10, s13
	v_add_co_u32_e32 v9, vcc, s12, v7
	v_addc_co_u32_e32 v10, vcc, v10, v8, vcc
	global_load_dwordx2 v[7:8], v[9:10], off
	s_andn2_b64 vcc, exec, s[2:3]
	v_cmp_eq_u32_e64 s[0:1], 0, v17
	s_waitcnt vmcnt(0)
	v_cmp_gt_f64_e64 s[2:3], 0, v[7:8]
	v_xor_b32_e32 v12, 0x80000000, v8
	v_mov_b32_e32 v11, v7
	v_cndmask_b32_e64 v12, v8, v12, s[2:3]
	s_mov_b64 s[2:3], -1
	s_cbranch_vccnz .LBB14_66
; %bb.63:
	v_cvt_f64_f32_e32 v[13:14], v18
	s_cmp_eq_u64 s[24:25], 8
	s_cselect_b64 vcc, -1, 0
	v_cndmask_b32_e32 v3, v14, v3, vcc
	v_cndmask_b32_e32 v2, v13, v2, vcc
	v_cmp_le_f64_e32 vcc, v[11:12], v[2:3]
	s_and_b64 s[8:9], s[0:1], vcc
	s_and_saveexec_b64 s[2:3], s[8:9]
	s_cbranch_execz .LBB14_65
; %bb.64:
	global_store_dwordx2 v[9:10], v[4:5], off
	s_waitcnt vmcnt(0)
	buffer_wbinvl1_vol
.LBB14_65:
	s_or_b64 exec, exec, s[2:3]
	s_mov_b64 s[2:3], 0
.LBB14_66:
	s_andn2_b64 vcc, exec, s[2:3]
	s_cbranch_vccnz .LBB14_77
; %bb.67:
	s_load_dwordx2 s[2:3], s[4:5], 0x48
	v_add_u32_e32 v2, s34, v6
	s_waitcnt lgkmcnt(0)
	v_cmp_ge_f64_e32 vcc, s[2:3], v[11:12]
	s_and_b64 s[4:5], s[0:1], vcc
	s_and_saveexec_b64 s[2:3], s[4:5]
	s_cbranch_execz .LBB14_72
; %bb.68:
	s_mov_b64 s[4:5], exec
	s_brev_b32 s8, -2
.LBB14_69:                              ; =>This Inner Loop Header: Depth=1
	s_ff1_i32_b64 s9, s[4:5]
	v_readlane_b32 s12, v2, s9
	s_lshl_b64 s[10:11], 1, s9
	s_min_i32 s8, s8, s12
	s_andn2_b64 s[4:5], s[4:5], s[10:11]
	s_cmp_lg_u64 s[4:5], 0
	s_cbranch_scc1 .LBB14_69
; %bb.70:
	v_mbcnt_lo_u32_b32 v3, exec_lo, 0
	v_mbcnt_hi_u32_b32 v3, exec_hi, v3
	v_cmp_eq_u32_e32 vcc, 0, v3
	s_and_saveexec_b64 s[4:5], vcc
	s_xor_b64 s[4:5], exec, s[4:5]
	s_cbranch_execz .LBB14_72
; %bb.71:
	v_mov_b32_e32 v3, 0
	v_mov_b32_e32 v4, s8
	global_atomic_smin v3, v4, s[22:23]
.LBB14_72:
	s_or_b64 exec, exec, s[2:3]
	v_cmp_eq_f64_e32 vcc, 0, v[7:8]
	s_and_b64 s[0:1], s[0:1], vcc
	s_and_b64 exec, exec, s[0:1]
	s_cbranch_execz .LBB14_77
; %bb.73:
	s_mov_b64 s[0:1], exec
	s_brev_b32 s2, -2
.LBB14_74:                              ; =>This Inner Loop Header: Depth=1
	s_ff1_i32_b64 s3, s[0:1]
	v_readlane_b32 s8, v2, s3
	s_lshl_b64 s[4:5], 1, s3
	s_min_i32 s2, s2, s8
	s_andn2_b64 s[0:1], s[0:1], s[4:5]
	s_cmp_lg_u64 s[0:1], 0
	s_cbranch_scc1 .LBB14_74
; %bb.75:
	v_mbcnt_lo_u32_b32 v2, exec_lo, 0
	v_mbcnt_hi_u32_b32 v2, exec_hi, v2
	v_cmp_eq_u32_e32 vcc, 0, v2
	s_and_saveexec_b64 s[0:1], vcc
	s_xor_b64 s[0:1], exec, s[0:1]
	s_cbranch_execz .LBB14_77
; %bb.76:
	v_mov_b32_e32 v2, 0
	v_mov_b32_e32 v3, s2
	global_atomic_smin v2, v3, s[20:21]
.LBB14_77:
	s_or_b64 exec, exec, s[6:7]
	v_cmp_eq_u32_e32 vcc, 0, v17
	s_waitcnt vmcnt(0)
	buffer_wbinvl1_vol
	s_and_b64 exec, exec, vcc
	s_cbranch_execz .LBB14_79
; %bb.78:
	v_mov_b32_e32 v2, s17
	v_add_co_u32_e32 v0, vcc, s16, v0
	v_addc_co_u32_e32 v1, vcc, v2, v1, vcc
	v_mov_b32_e32 v2, 1
	global_store_dword v[0:1], v2, off
.LBB14_79:
	s_endpgm
	.section	.rodata,"a",@progbits
	.p2align	6, 0x0
	.amdhsa_kernel _ZN9rocsparseL12csrilu0_hashILj256ELj32ELj1EdEEviPKiS2_PT2_S2_PiS2_S5_S5_d21rocsparse_index_base_imNS_24const_host_device_scalarIfEENS7_IdEENS7_IS3_EEb
		.amdhsa_group_segment_fixed_size 2048
		.amdhsa_private_segment_fixed_size 0
		.amdhsa_kernarg_size 124
		.amdhsa_user_sgpr_count 6
		.amdhsa_user_sgpr_private_segment_buffer 1
		.amdhsa_user_sgpr_dispatch_ptr 0
		.amdhsa_user_sgpr_queue_ptr 0
		.amdhsa_user_sgpr_kernarg_segment_ptr 1
		.amdhsa_user_sgpr_dispatch_id 0
		.amdhsa_user_sgpr_flat_scratch_init 0
		.amdhsa_user_sgpr_private_segment_size 0
		.amdhsa_uses_dynamic_stack 0
		.amdhsa_system_sgpr_private_segment_wavefront_offset 0
		.amdhsa_system_sgpr_workgroup_id_x 1
		.amdhsa_system_sgpr_workgroup_id_y 0
		.amdhsa_system_sgpr_workgroup_id_z 0
		.amdhsa_system_sgpr_workgroup_info 0
		.amdhsa_system_vgpr_workitem_id 0
		.amdhsa_next_free_vgpr 35
		.amdhsa_next_free_sgpr 62
		.amdhsa_reserve_vcc 1
		.amdhsa_reserve_flat_scratch 0
		.amdhsa_float_round_mode_32 0
		.amdhsa_float_round_mode_16_64 0
		.amdhsa_float_denorm_mode_32 3
		.amdhsa_float_denorm_mode_16_64 3
		.amdhsa_dx10_clamp 1
		.amdhsa_ieee_mode 1
		.amdhsa_fp16_overflow 0
		.amdhsa_exception_fp_ieee_invalid_op 0
		.amdhsa_exception_fp_denorm_src 0
		.amdhsa_exception_fp_ieee_div_zero 0
		.amdhsa_exception_fp_ieee_overflow 0
		.amdhsa_exception_fp_ieee_underflow 0
		.amdhsa_exception_fp_ieee_inexact 0
		.amdhsa_exception_int_div_zero 0
	.end_amdhsa_kernel
	.section	.text._ZN9rocsparseL12csrilu0_hashILj256ELj32ELj1EdEEviPKiS2_PT2_S2_PiS2_S5_S5_d21rocsparse_index_base_imNS_24const_host_device_scalarIfEENS7_IdEENS7_IS3_EEb,"axG",@progbits,_ZN9rocsparseL12csrilu0_hashILj256ELj32ELj1EdEEviPKiS2_PT2_S2_PiS2_S5_S5_d21rocsparse_index_base_imNS_24const_host_device_scalarIfEENS7_IdEENS7_IS3_EEb,comdat
.Lfunc_end14:
	.size	_ZN9rocsparseL12csrilu0_hashILj256ELj32ELj1EdEEviPKiS2_PT2_S2_PiS2_S5_S5_d21rocsparse_index_base_imNS_24const_host_device_scalarIfEENS7_IdEENS7_IS3_EEb, .Lfunc_end14-_ZN9rocsparseL12csrilu0_hashILj256ELj32ELj1EdEEviPKiS2_PT2_S2_PiS2_S5_S5_d21rocsparse_index_base_imNS_24const_host_device_scalarIfEENS7_IdEENS7_IS3_EEb
                                        ; -- End function
	.set _ZN9rocsparseL12csrilu0_hashILj256ELj32ELj1EdEEviPKiS2_PT2_S2_PiS2_S5_S5_d21rocsparse_index_base_imNS_24const_host_device_scalarIfEENS7_IdEENS7_IS3_EEb.num_vgpr, 35
	.set _ZN9rocsparseL12csrilu0_hashILj256ELj32ELj1EdEEviPKiS2_PT2_S2_PiS2_S5_S5_d21rocsparse_index_base_imNS_24const_host_device_scalarIfEENS7_IdEENS7_IS3_EEb.num_agpr, 0
	.set _ZN9rocsparseL12csrilu0_hashILj256ELj32ELj1EdEEviPKiS2_PT2_S2_PiS2_S5_S5_d21rocsparse_index_base_imNS_24const_host_device_scalarIfEENS7_IdEENS7_IS3_EEb.numbered_sgpr, 62
	.set _ZN9rocsparseL12csrilu0_hashILj256ELj32ELj1EdEEviPKiS2_PT2_S2_PiS2_S5_S5_d21rocsparse_index_base_imNS_24const_host_device_scalarIfEENS7_IdEENS7_IS3_EEb.num_named_barrier, 0
	.set _ZN9rocsparseL12csrilu0_hashILj256ELj32ELj1EdEEviPKiS2_PT2_S2_PiS2_S5_S5_d21rocsparse_index_base_imNS_24const_host_device_scalarIfEENS7_IdEENS7_IS3_EEb.private_seg_size, 0
	.set _ZN9rocsparseL12csrilu0_hashILj256ELj32ELj1EdEEviPKiS2_PT2_S2_PiS2_S5_S5_d21rocsparse_index_base_imNS_24const_host_device_scalarIfEENS7_IdEENS7_IS3_EEb.uses_vcc, 1
	.set _ZN9rocsparseL12csrilu0_hashILj256ELj32ELj1EdEEviPKiS2_PT2_S2_PiS2_S5_S5_d21rocsparse_index_base_imNS_24const_host_device_scalarIfEENS7_IdEENS7_IS3_EEb.uses_flat_scratch, 0
	.set _ZN9rocsparseL12csrilu0_hashILj256ELj32ELj1EdEEviPKiS2_PT2_S2_PiS2_S5_S5_d21rocsparse_index_base_imNS_24const_host_device_scalarIfEENS7_IdEENS7_IS3_EEb.has_dyn_sized_stack, 0
	.set _ZN9rocsparseL12csrilu0_hashILj256ELj32ELj1EdEEviPKiS2_PT2_S2_PiS2_S5_S5_d21rocsparse_index_base_imNS_24const_host_device_scalarIfEENS7_IdEENS7_IS3_EEb.has_recursion, 0
	.set _ZN9rocsparseL12csrilu0_hashILj256ELj32ELj1EdEEviPKiS2_PT2_S2_PiS2_S5_S5_d21rocsparse_index_base_imNS_24const_host_device_scalarIfEENS7_IdEENS7_IS3_EEb.has_indirect_call, 0
	.section	.AMDGPU.csdata,"",@progbits
; Kernel info:
; codeLenInByte = 2512
; TotalNumSgprs: 66
; NumVgprs: 35
; ScratchSize: 0
; MemoryBound: 0
; FloatMode: 240
; IeeeMode: 1
; LDSByteSize: 2048 bytes/workgroup (compile time only)
; SGPRBlocks: 8
; VGPRBlocks: 8
; NumSGPRsForWavesPerEU: 66
; NumVGPRsForWavesPerEU: 35
; Occupancy: 7
; WaveLimiterHint : 1
; COMPUTE_PGM_RSRC2:SCRATCH_EN: 0
; COMPUTE_PGM_RSRC2:USER_SGPR: 6
; COMPUTE_PGM_RSRC2:TRAP_HANDLER: 0
; COMPUTE_PGM_RSRC2:TGID_X_EN: 1
; COMPUTE_PGM_RSRC2:TGID_Y_EN: 0
; COMPUTE_PGM_RSRC2:TGID_Z_EN: 0
; COMPUTE_PGM_RSRC2:TIDIG_COMP_CNT: 0
	.section	.text._ZN9rocsparseL12csrilu0_hashILj256ELj32ELj2EdEEviPKiS2_PT2_S2_PiS2_S5_S5_d21rocsparse_index_base_imNS_24const_host_device_scalarIfEENS7_IdEENS7_IS3_EEb,"axG",@progbits,_ZN9rocsparseL12csrilu0_hashILj256ELj32ELj2EdEEviPKiS2_PT2_S2_PiS2_S5_S5_d21rocsparse_index_base_imNS_24const_host_device_scalarIfEENS7_IdEENS7_IS3_EEb,comdat
	.globl	_ZN9rocsparseL12csrilu0_hashILj256ELj32ELj2EdEEviPKiS2_PT2_S2_PiS2_S5_S5_d21rocsparse_index_base_imNS_24const_host_device_scalarIfEENS7_IdEENS7_IS3_EEb ; -- Begin function _ZN9rocsparseL12csrilu0_hashILj256ELj32ELj2EdEEviPKiS2_PT2_S2_PiS2_S5_S5_d21rocsparse_index_base_imNS_24const_host_device_scalarIfEENS7_IdEENS7_IS3_EEb
	.p2align	8
	.type	_ZN9rocsparseL12csrilu0_hashILj256ELj32ELj2EdEEviPKiS2_PT2_S2_PiS2_S5_S5_d21rocsparse_index_base_imNS_24const_host_device_scalarIfEENS7_IdEENS7_IS3_EEb,@function
_ZN9rocsparseL12csrilu0_hashILj256ELj32ELj2EdEEviPKiS2_PT2_S2_PiS2_S5_S5_d21rocsparse_index_base_imNS_24const_host_device_scalarIfEENS7_IdEENS7_IS3_EEb: ; @_ZN9rocsparseL12csrilu0_hashILj256ELj32ELj2EdEEviPKiS2_PT2_S2_PiS2_S5_S5_d21rocsparse_index_base_imNS_24const_host_device_scalarIfEENS7_IdEENS7_IS3_EEb
; %bb.0:
	s_load_dword s0, s[4:5], 0x78
	s_load_dwordx2 s[34:35], s[4:5], 0x50
	s_load_dwordx8 s[24:31], s[4:5], 0x58
	s_waitcnt lgkmcnt(0)
	s_bitcmp1_b32 s0, 0
	s_cselect_b64 s[0:1], -1, 0
	s_cmp_eq_u32 s35, 0
	s_cselect_b64 s[8:9], -1, 0
	s_cmp_lg_u32 s35, 0
	s_cselect_b64 s[2:3], -1, 0
	s_or_b64 s[0:1], s[8:9], s[0:1]
	s_xor_b64 s[10:11], s[0:1], -1
	s_and_b64 s[12:13], s[8:9], exec
	s_cselect_b32 s13, 0, s29
	s_cselect_b32 s12, 0, s28
	s_and_b64 vcc, exec, s[0:1]
	s_cbranch_vccnz .LBB15_2
; %bb.1:
	s_load_dword s0, s[26:27], 0x0
	s_mov_b64 s[12:13], s[28:29]
	s_waitcnt lgkmcnt(0)
	v_mov_b32_e32 v19, s0
	s_branch .LBB15_3
.LBB15_2:
	v_mov_b32_e32 v1, s26
	v_cndmask_b32_e64 v19, v1, 0, s[8:9]
.LBB15_3:
	v_cndmask_b32_e64 v1, 0, 1, s[10:11]
	v_mov_b32_e32 v3, s12
	v_cmp_ne_u32_e64 s[0:1], 1, v1
	s_andn2_b64 vcc, exec, s[10:11]
	v_mov_b32_e32 v4, s13
	s_cbranch_vccnz .LBB15_5
; %bb.4:
	v_mov_b32_e32 v1, s28
	v_mov_b32_e32 v2, s29
	flat_load_dwordx2 v[3:4], v[1:2]
.LBB15_5:
	s_and_b64 s[8:9], s[8:9], exec
	s_cselect_b32 s8, 0, s30
	s_cselect_b32 s9, 0, s31
	v_mov_b32_e32 v5, s8
	s_and_b64 vcc, exec, s[0:1]
	v_mov_b32_e32 v6, s9
	s_cbranch_vccnz .LBB15_7
; %bb.6:
	v_mov_b32_e32 v1, s30
	v_mov_b32_e32 v2, s31
	flat_load_dwordx2 v[5:6], v[1:2]
.LBB15_7:
	v_and_b32_e32 v18, 31, v0
	v_lshrrev_b32_e32 v1, 5, v0
	v_lshlrev_b32_e32 v7, 8, v1
	v_lshlrev_b32_e32 v8, 2, v18
	s_movk_i32 s0, 0x800
	v_or_b32_e32 v2, 0xffffffe0, v18
	v_or3_b32 v7, v7, v8, s0
	s_mov_b64 s[0:1], 0
	v_mov_b32_e32 v8, -1
.LBB15_8:                               ; =>This Inner Loop Header: Depth=1
	v_add_co_u32_e32 v2, vcc, 32, v2
	s_xor_b64 s[8:9], vcc, -1
	s_and_b64 s[8:9], exec, s[8:9]
	ds_write_b32 v7, v8
	s_or_b64 s[0:1], s[8:9], s[0:1]
	v_add_u32_e32 v7, 0x80, v7
	s_andn2_b64 exec, exec, s[0:1]
	s_cbranch_execnz .LBB15_8
; %bb.9:
	s_or_b64 exec, exec, s[0:1]
	s_load_dword s0, s[4:5], 0x0
	s_lshl_b32 s1, s6, 3
	s_and_b32 s1, s1, 0x7fffff8
	v_or_b32_e32 v1, s1, v1
	s_waitcnt lgkmcnt(0)
	v_cmp_gt_i32_e32 vcc, s0, v1
	s_and_saveexec_b64 s[0:1], vcc
	s_cbranch_execz .LBB15_81
; %bb.10:
	s_load_dwordx16 s[8:23], s[4:5], 0x8
	v_lshlrev_b32_e32 v1, 2, v1
	v_lshlrev_b32_e32 v0, 3, v0
	v_and_b32_e32 v0, 0x700, v0
	v_or_b32_e32 v20, 0x800, v0
	s_waitcnt lgkmcnt(0)
	global_load_dword v7, v1, s[18:19]
	v_mov_b32_e32 v9, s9
	v_mov_b32_e32 v12, s15
	s_waitcnt vmcnt(0)
	v_ashrrev_i32_e32 v8, 31, v7
	v_lshlrev_b64 v[1:2], 2, v[7:8]
	v_add_co_u32_e32 v8, vcc, s8, v1
	v_addc_co_u32_e32 v9, vcc, v9, v2, vcc
	global_load_dwordx2 v[9:10], v[8:9], off
	v_add_co_u32_e32 v11, vcc, s14, v1
	v_addc_co_u32_e32 v12, vcc, v12, v2, vcc
	global_load_dword v8, v[11:12], off
	s_waitcnt vmcnt(1)
	v_subrev_u32_e32 v9, s34, v9
	v_subrev_u32_e32 v12, s34, v10
	v_add_u32_e32 v10, v9, v18
	v_cmp_lt_i32_e32 vcc, v10, v12
	s_and_saveexec_b64 s[0:1], vcc
	s_cbranch_execz .LBB15_33
; %bb.11:
	s_mov_b64 s[6:7], 0
	v_mov_b32_e32 v13, s11
	v_mov_b32_e32 v14, -1
	s_branch .LBB15_13
.LBB15_12:                              ;   in Loop: Header=BB15_13 Depth=1
	s_or_b64 exec, exec, s[18:19]
	v_add_u32_e32 v10, 32, v10
	v_cmp_ge_i32_e32 vcc, v10, v12
	s_or_b64 s[6:7], vcc, s[6:7]
	s_andn2_b64 exec, exec, s[6:7]
	s_cbranch_execz .LBB15_33
.LBB15_13:                              ; =>This Loop Header: Depth=1
                                        ;     Child Loop BB15_22 Depth 2
	v_ashrrev_i32_e32 v11, 31, v10
	v_lshlrev_b64 v[15:16], 2, v[10:11]
	s_mov_b64 s[26:27], 0
	v_add_co_u32_e32 v15, vcc, s10, v15
	v_addc_co_u32_e32 v16, vcc, v13, v16, vcc
	global_load_dword v11, v[15:16], off
	v_mov_b32_e32 v15, 64
                                        ; implicit-def: $sgpr18_sgpr19
                                        ; implicit-def: $sgpr28_sgpr29
                                        ; implicit-def: $sgpr30_sgpr31
	s_waitcnt vmcnt(0)
	v_mul_lo_u32 v17, v11, 39
	s_branch .LBB15_22
.LBB15_14:                              ;   in Loop: Header=BB15_22 Depth=2
	s_or_b64 exec, exec, s[54:55]
	s_orn2_b64 s[50:51], s[50:51], exec
	s_orn2_b64 s[52:53], s[52:53], exec
.LBB15_15:                              ;   in Loop: Header=BB15_22 Depth=2
	s_or_b64 exec, exec, s[48:49]
	s_and_b64 s[50:51], s[50:51], exec
	s_orn2_b64 s[48:49], s[52:53], exec
.LBB15_16:                              ;   in Loop: Header=BB15_22 Depth=2
	s_or_b64 exec, exec, s[46:47]
	s_orn2_b64 s[50:51], s[50:51], exec
	s_orn2_b64 s[46:47], s[48:49], exec
.LBB15_17:                              ;   in Loop: Header=BB15_22 Depth=2
	s_or_b64 exec, exec, s[44:45]
	s_and_b64 s[48:49], s[50:51], exec
	s_orn2_b64 s[44:45], s[46:47], exec
.LBB15_18:                              ;   in Loop: Header=BB15_22 Depth=2
	s_or_b64 exec, exec, s[42:43]
	s_orn2_b64 s[42:43], s[48:49], exec
	s_orn2_b64 s[44:45], s[44:45], exec
.LBB15_19:                              ;   in Loop: Header=BB15_22 Depth=2
	s_or_b64 exec, exec, s[40:41]
	s_and_b64 s[42:43], s[42:43], exec
	s_orn2_b64 s[40:41], s[44:45], exec
.LBB15_20:                              ;   in Loop: Header=BB15_22 Depth=2
	s_or_b64 exec, exec, s[38:39]
	s_andn2_b64 s[30:31], s[30:31], exec
	s_and_b64 s[38:39], s[42:43], exec
	s_or_b64 s[30:31], s[30:31], s[38:39]
	s_andn2_b64 s[28:29], s[28:29], exec
	s_and_b64 s[38:39], s[40:41], exec
	s_or_b64 s[28:29], s[28:29], s[38:39]
.LBB15_21:                              ;   in Loop: Header=BB15_22 Depth=2
	s_or_b64 exec, exec, s[36:37]
	s_and_b64 s[36:37], exec, s[28:29]
	s_or_b64 s[26:27], s[36:37], s[26:27]
	s_andn2_b64 s[18:19], s[18:19], exec
	s_and_b64 s[36:37], s[30:31], exec
	s_or_b64 s[18:19], s[18:19], s[36:37]
	s_andn2_b64 exec, exec, s[26:27]
	s_cbranch_execz .LBB15_31
.LBB15_22:                              ;   Parent Loop BB15_13 Depth=1
                                        ; =>  This Inner Loop Header: Depth=2
	v_and_b32_e32 v16, 63, v17
	v_lshl_add_u32 v21, v16, 2, v20
	ds_read_b32 v22, v21
	s_or_b64 s[30:31], s[30:31], exec
	s_or_b64 s[28:29], s[28:29], exec
	s_waitcnt lgkmcnt(0)
	v_cmp_ne_u32_e32 vcc, v22, v11
	s_and_saveexec_b64 s[36:37], vcc
	s_cbranch_execz .LBB15_21
; %bb.23:                               ;   in Loop: Header=BB15_22 Depth=2
	ds_cmpst_rtn_b32 v21, v21, v14, v11
	s_mov_b64 s[40:41], -1
	s_mov_b64 s[42:43], 0
	s_waitcnt lgkmcnt(0)
	v_cmp_ne_u32_e32 vcc, -1, v21
	s_and_saveexec_b64 s[38:39], vcc
	s_cbranch_execz .LBB15_20
; %bb.24:                               ;   in Loop: Header=BB15_22 Depth=2
	v_add_u32_e32 v16, 1, v17
	v_and_b32_e32 v16, 63, v16
	v_lshl_add_u32 v21, v16, 2, v20
	ds_read_b32 v22, v21
	s_mov_b64 s[44:45], -1
	s_mov_b64 s[42:43], -1
	s_waitcnt lgkmcnt(0)
	v_cmp_ne_u32_e32 vcc, v22, v11
	s_and_saveexec_b64 s[40:41], vcc
	s_cbranch_execz .LBB15_19
; %bb.25:                               ;   in Loop: Header=BB15_22 Depth=2
	ds_cmpst_rtn_b32 v21, v21, v14, v11
	s_mov_b64 s[48:49], 0
	s_waitcnt lgkmcnt(0)
	v_cmp_ne_u32_e32 vcc, -1, v21
	s_and_saveexec_b64 s[42:43], vcc
	s_cbranch_execz .LBB15_18
; %bb.26:                               ;   in Loop: Header=BB15_22 Depth=2
	v_add_u32_e32 v16, 2, v17
	v_and_b32_e32 v16, 63, v16
	v_lshl_add_u32 v21, v16, 2, v20
	ds_read_b32 v22, v21
	s_mov_b64 s[46:47], -1
	s_mov_b64 s[50:51], -1
	s_waitcnt lgkmcnt(0)
	v_cmp_ne_u32_e32 vcc, v22, v11
	s_and_saveexec_b64 s[44:45], vcc
	s_cbranch_execz .LBB15_17
; %bb.27:                               ;   in Loop: Header=BB15_22 Depth=2
	ds_cmpst_rtn_b32 v21, v21, v14, v11
	s_mov_b64 s[48:49], -1
	s_mov_b64 s[50:51], 0
	s_waitcnt lgkmcnt(0)
	v_cmp_ne_u32_e32 vcc, -1, v21
	s_and_saveexec_b64 s[46:47], vcc
	s_cbranch_execz .LBB15_16
; %bb.28:                               ;   in Loop: Header=BB15_22 Depth=2
	v_add_u32_e32 v16, 3, v17
	v_and_b32_e32 v16, 63, v16
	v_lshl_add_u32 v21, v16, 2, v20
	ds_read_b32 v17, v21
	s_mov_b64 s[52:53], -1
	s_mov_b64 s[50:51], -1
	s_waitcnt lgkmcnt(0)
	v_cmp_ne_u32_e32 vcc, v17, v11
                                        ; implicit-def: $vgpr17
	s_and_saveexec_b64 s[48:49], vcc
	s_cbranch_execz .LBB15_15
; %bb.29:                               ;   in Loop: Header=BB15_22 Depth=2
	ds_cmpst_rtn_b32 v17, v21, v14, v11
	s_mov_b64 s[50:51], 0
	s_waitcnt lgkmcnt(0)
	v_cmp_ne_u32_e32 vcc, -1, v17
                                        ; implicit-def: $vgpr17
	s_and_saveexec_b64 s[54:55], vcc
	s_cbranch_execz .LBB15_14
; %bb.30:                               ;   in Loop: Header=BB15_22 Depth=2
	v_add_u32_e32 v15, -4, v15
	v_cmp_eq_u32_e32 vcc, 0, v15
	s_mov_b64 s[50:51], exec
	v_add_u32_e32 v17, 1, v16
	s_orn2_b64 s[52:53], vcc, exec
	s_branch .LBB15_14
.LBB15_31:                              ;   in Loop: Header=BB15_13 Depth=1
	s_or_b64 exec, exec, s[26:27]
	s_xor_b64 s[18:19], s[18:19], -1
	s_and_saveexec_b64 s[26:27], s[18:19]
	s_xor_b64 s[18:19], exec, s[26:27]
	s_cbranch_execz .LBB15_12
; %bb.32:                               ;   in Loop: Header=BB15_13 Depth=1
	v_lshl_add_u32 v11, v16, 2, v0
	ds_write_b32 v11, v10
	s_branch .LBB15_12
.LBB15_33:
	s_or_b64 exec, exec, s[0:1]
	s_waitcnt vmcnt(0)
	v_cmp_lt_i32_e32 vcc, v9, v8
	s_waitcnt lgkmcnt(0)
	s_and_saveexec_b64 s[0:1], vcc
	s_cbranch_execz .LBB15_63
; %bb.34:
	s_mov_b64 s[6:7], 0
	v_mov_b32_e32 v21, s11
	v_mov_b32_e32 v22, s13
	;; [unrolled: 1-line block ×5, first 2 shown]
	s_branch .LBB15_37
.LBB15_35:                              ;   in Loop: Header=BB15_37 Depth=1
	s_or_b64 exec, exec, s[26:27]
	v_add_u32_e32 v9, 1, v9
	v_cmp_ge_i32_e32 vcc, v9, v8
	s_orn2_b64 s[26:27], vcc, exec
.LBB15_36:                              ;   in Loop: Header=BB15_37 Depth=1
	s_or_b64 exec, exec, s[18:19]
	s_and_b64 s[18:19], exec, s[26:27]
	s_or_b64 s[6:7], s[18:19], s[6:7]
	s_andn2_b64 exec, exec, s[6:7]
	s_cbranch_execz .LBB15_63
.LBB15_37:                              ; =>This Loop Header: Depth=1
                                        ;     Child Loop BB15_38 Depth 2
                                        ;     Child Loop BB15_43 Depth 2
                                        ;       Child Loop BB15_52 Depth 3
	v_ashrrev_i32_e32 v10, 31, v9
	v_lshlrev_b64 v[11:12], 2, v[9:10]
	s_mov_b64 s[18:19], 0
	v_add_co_u32_e32 v11, vcc, s10, v11
	v_addc_co_u32_e32 v12, vcc, v21, v12, vcc
	global_load_dword v12, v[11:12], off
	v_lshlrev_b64 v[10:11], 3, v[9:10]
	v_add_co_u32_e32 v13, vcc, s12, v10
	v_addc_co_u32_e32 v14, vcc, v22, v11, vcc
	global_load_dwordx2 v[10:11], v[13:14], off
	s_waitcnt vmcnt(1)
	v_subrev_u32_e32 v15, s34, v12
	v_ashrrev_i32_e32 v16, 31, v15
	v_lshlrev_b64 v[15:16], 2, v[15:16]
	v_add_co_u32_e32 v26, vcc, s8, v15
	v_addc_co_u32_e32 v27, vcc, v23, v16, vcc
	v_add_co_u32_e32 v28, vcc, s14, v15
	v_addc_co_u32_e32 v29, vcc, v24, v16, vcc
	global_load_dword v12, v[26:27], off offset:4
	global_load_dword v17, v[28:29], off
	v_add_co_u32_e32 v15, vcc, s16, v15
	v_addc_co_u32_e32 v16, vcc, v25, v16, vcc
.LBB15_38:                              ;   Parent Loop BB15_37 Depth=1
                                        ; =>  This Inner Loop Header: Depth=2
	global_load_dword v26, v[15:16], off glc
	s_waitcnt vmcnt(0)
	v_cmp_ne_u32_e32 vcc, 0, v26
	s_or_b64 s[18:19], vcc, s[18:19]
	s_andn2_b64 exec, exec, s[18:19]
	s_cbranch_execnz .LBB15_38
; %bb.39:                               ;   in Loop: Header=BB15_37 Depth=1
	s_or_b64 exec, exec, s[18:19]
	v_subrev_u32_e32 v26, s34, v12
	v_add_u32_e32 v12, -1, v26
	v_cmp_eq_u32_e32 vcc, -1, v17
	v_cndmask_b32_e32 v15, v17, v12, vcc
	v_ashrrev_i32_e32 v16, 31, v15
	v_lshlrev_b64 v[16:17], 3, v[15:16]
	buffer_wbinvl1_vol
	v_add_co_u32_e32 v16, vcc, s12, v16
	v_addc_co_u32_e32 v17, vcc, v22, v17, vcc
	global_load_dwordx2 v[16:17], v[16:17], off
	s_mov_b64 s[26:27], -1
	s_waitcnt vmcnt(0)
	v_cmp_neq_f64_e32 vcc, 0, v[16:17]
	s_and_saveexec_b64 s[18:19], vcc
	s_cbranch_execz .LBB15_36
; %bb.40:                               ;   in Loop: Header=BB15_37 Depth=1
	v_div_scale_f64 v[27:28], s[26:27], v[16:17], v[16:17], v[10:11]
	v_add_u32_e32 v12, 1, v18
	v_add_u32_e32 v12, v12, v15
	v_rcp_f64_e32 v[29:30], v[27:28]
	v_fma_f64 v[31:32], -v[27:28], v[29:30], 1.0
	v_fma_f64 v[29:30], v[29:30], v[31:32], v[29:30]
	v_div_scale_f64 v[31:32], vcc, v[10:11], v[16:17], v[10:11]
	v_fma_f64 v[33:34], -v[27:28], v[29:30], 1.0
	v_fma_f64 v[29:30], v[29:30], v[33:34], v[29:30]
	v_mul_f64 v[33:34], v[31:32], v[29:30]
	v_fma_f64 v[27:28], -v[27:28], v[33:34], v[31:32]
	v_div_fmas_f64 v[27:28], v[27:28], v[29:30], v[33:34]
	v_cmp_lt_i32_e32 vcc, v12, v26
	v_div_fixup_f64 v[10:11], v[27:28], v[16:17], v[10:11]
	global_store_dwordx2 v[13:14], v[10:11], off
	s_and_saveexec_b64 s[26:27], vcc
	s_cbranch_execz .LBB15_35
; %bb.41:                               ;   in Loop: Header=BB15_37 Depth=1
	s_mov_b64 s[28:29], 0
	s_branch .LBB15_43
.LBB15_42:                              ;   in Loop: Header=BB15_43 Depth=2
	s_or_b64 exec, exec, s[30:31]
	v_add_u32_e32 v12, 32, v12
	v_cmp_ge_i32_e32 vcc, v12, v26
	s_or_b64 s[28:29], vcc, s[28:29]
	s_andn2_b64 exec, exec, s[28:29]
	s_cbranch_execz .LBB15_35
.LBB15_43:                              ;   Parent Loop BB15_37 Depth=1
                                        ; =>  This Loop Header: Depth=2
                                        ;       Child Loop BB15_52 Depth 3
	v_ashrrev_i32_e32 v13, 31, v12
	v_lshlrev_b64 v[14:15], 2, v[12:13]
	s_mov_b64 s[36:37], 0
	v_add_co_u32_e32 v14, vcc, s10, v14
	v_addc_co_u32_e32 v15, vcc, v21, v15, vcc
	global_load_dword v14, v[14:15], off
	v_mov_b32_e32 v15, 64
                                        ; implicit-def: $sgpr30_sgpr31
                                        ; implicit-def: $sgpr38_sgpr39
                                        ; implicit-def: $sgpr40_sgpr41
	s_waitcnt vmcnt(0)
	v_mul_lo_u32 v17, v14, 39
	s_branch .LBB15_52
.LBB15_44:                              ;   in Loop: Header=BB15_52 Depth=3
	s_or_b64 exec, exec, s[60:61]
	s_orn2_b64 s[56:57], s[56:57], exec
	s_orn2_b64 s[58:59], s[58:59], exec
.LBB15_45:                              ;   in Loop: Header=BB15_52 Depth=3
	s_or_b64 exec, exec, s[54:55]
	s_and_b64 s[56:57], s[56:57], exec
	s_orn2_b64 s[54:55], s[58:59], exec
.LBB15_46:                              ;   in Loop: Header=BB15_52 Depth=3
	s_or_b64 exec, exec, s[52:53]
	s_orn2_b64 s[56:57], s[56:57], exec
	s_orn2_b64 s[52:53], s[54:55], exec
.LBB15_47:                              ;   in Loop: Header=BB15_52 Depth=3
	s_or_b64 exec, exec, s[50:51]
	s_and_b64 s[54:55], s[56:57], exec
	s_orn2_b64 s[50:51], s[52:53], exec
.LBB15_48:                              ;   in Loop: Header=BB15_52 Depth=3
	s_or_b64 exec, exec, s[48:49]
	s_orn2_b64 s[48:49], s[54:55], exec
	s_orn2_b64 s[50:51], s[50:51], exec
.LBB15_49:                              ;   in Loop: Header=BB15_52 Depth=3
	s_or_b64 exec, exec, s[46:47]
	s_and_b64 s[48:49], s[48:49], exec
	s_orn2_b64 s[46:47], s[50:51], exec
.LBB15_50:                              ;   in Loop: Header=BB15_52 Depth=3
	s_or_b64 exec, exec, s[44:45]
	s_andn2_b64 s[40:41], s[40:41], exec
	s_and_b64 s[44:45], s[48:49], exec
	s_or_b64 s[40:41], s[40:41], s[44:45]
	s_andn2_b64 s[38:39], s[38:39], exec
	s_and_b64 s[44:45], s[46:47], exec
	s_or_b64 s[38:39], s[38:39], s[44:45]
.LBB15_51:                              ;   in Loop: Header=BB15_52 Depth=3
	s_or_b64 exec, exec, s[42:43]
	s_and_b64 s[42:43], exec, s[38:39]
	s_or_b64 s[36:37], s[42:43], s[36:37]
	s_andn2_b64 s[30:31], s[30:31], exec
	s_and_b64 s[42:43], s[40:41], exec
	s_or_b64 s[30:31], s[30:31], s[42:43]
	s_andn2_b64 exec, exec, s[36:37]
	s_cbranch_execz .LBB15_61
.LBB15_52:                              ;   Parent Loop BB15_37 Depth=1
                                        ;     Parent Loop BB15_43 Depth=2
                                        ; =>    This Inner Loop Header: Depth=3
	v_and_b32_e32 v16, 63, v17
	v_lshl_add_u32 v27, v16, 2, v20
	ds_read_b32 v27, v27
	s_or_b64 s[40:41], s[40:41], exec
	s_or_b64 s[38:39], s[38:39], exec
	s_waitcnt lgkmcnt(0)
	v_cmp_ne_u32_e32 vcc, -1, v27
	s_and_saveexec_b64 s[42:43], vcc
	s_cbranch_execz .LBB15_51
; %bb.53:                               ;   in Loop: Header=BB15_52 Depth=3
	v_cmp_ne_u32_e32 vcc, v27, v14
	s_mov_b64 s[46:47], -1
	s_mov_b64 s[48:49], 0
	s_and_saveexec_b64 s[44:45], vcc
	s_cbranch_execz .LBB15_50
; %bb.54:                               ;   in Loop: Header=BB15_52 Depth=3
	v_add_u32_e32 v16, 1, v17
	v_and_b32_e32 v16, 63, v16
	v_lshl_add_u32 v27, v16, 2, v20
	ds_read_b32 v27, v27
	s_mov_b64 s[50:51], -1
	s_mov_b64 s[48:49], -1
	s_waitcnt lgkmcnt(0)
	v_cmp_ne_u32_e32 vcc, -1, v27
	s_and_saveexec_b64 s[46:47], vcc
	s_cbranch_execz .LBB15_49
; %bb.55:                               ;   in Loop: Header=BB15_52 Depth=3
	v_cmp_ne_u32_e32 vcc, v27, v14
	s_mov_b64 s[54:55], 0
	s_and_saveexec_b64 s[48:49], vcc
	s_cbranch_execz .LBB15_48
; %bb.56:                               ;   in Loop: Header=BB15_52 Depth=3
	v_add_u32_e32 v16, 2, v17
	v_and_b32_e32 v16, 63, v16
	v_lshl_add_u32 v27, v16, 2, v20
	ds_read_b32 v27, v27
	s_mov_b64 s[52:53], -1
	s_mov_b64 s[56:57], -1
	s_waitcnt lgkmcnt(0)
	v_cmp_ne_u32_e32 vcc, -1, v27
	s_and_saveexec_b64 s[50:51], vcc
	s_cbranch_execz .LBB15_47
; %bb.57:                               ;   in Loop: Header=BB15_52 Depth=3
	v_cmp_ne_u32_e32 vcc, v27, v14
	s_mov_b64 s[54:55], -1
	s_mov_b64 s[56:57], 0
	s_and_saveexec_b64 s[52:53], vcc
	s_cbranch_execz .LBB15_46
; %bb.58:                               ;   in Loop: Header=BB15_52 Depth=3
	v_add_u32_e32 v16, 3, v17
	v_and_b32_e32 v16, 63, v16
	v_lshl_add_u32 v17, v16, 2, v20
	ds_read_b32 v27, v17
	s_mov_b64 s[58:59], -1
	s_mov_b64 s[56:57], -1
                                        ; implicit-def: $vgpr17
	s_waitcnt lgkmcnt(0)
	v_cmp_ne_u32_e32 vcc, -1, v27
	s_and_saveexec_b64 s[54:55], vcc
	s_cbranch_execz .LBB15_45
; %bb.59:                               ;   in Loop: Header=BB15_52 Depth=3
	v_cmp_ne_u32_e32 vcc, v27, v14
	s_mov_b64 s[56:57], 0
                                        ; implicit-def: $vgpr17
	s_and_saveexec_b64 s[60:61], vcc
	s_cbranch_execz .LBB15_44
; %bb.60:                               ;   in Loop: Header=BB15_52 Depth=3
	v_add_u32_e32 v15, -4, v15
	v_cmp_eq_u32_e32 vcc, 0, v15
	s_mov_b64 s[56:57], exec
	v_add_u32_e32 v17, 1, v16
	s_orn2_b64 s[58:59], vcc, exec
	s_branch .LBB15_44
.LBB15_61:                              ;   in Loop: Header=BB15_43 Depth=2
	s_or_b64 exec, exec, s[36:37]
	s_xor_b64 s[30:31], s[30:31], -1
	s_and_saveexec_b64 s[36:37], s[30:31]
	s_xor_b64 s[30:31], exec, s[36:37]
	s_cbranch_execz .LBB15_42
; %bb.62:                               ;   in Loop: Header=BB15_43 Depth=2
	v_lshl_add_u32 v14, v16, 2, v0
	ds_read_b32 v14, v14
	v_lshlrev_b64 v[16:17], 3, v[12:13]
	v_mov_b32_e32 v27, s13
	v_add_co_u32_e32 v16, vcc, s12, v16
	s_waitcnt lgkmcnt(0)
	v_ashrrev_i32_e32 v15, 31, v14
	v_lshlrev_b64 v[13:14], 3, v[14:15]
	v_addc_co_u32_e32 v17, vcc, v27, v17, vcc
	v_add_co_u32_e32 v13, vcc, s12, v13
	v_addc_co_u32_e32 v14, vcc, v27, v14, vcc
	global_load_dwordx2 v[27:28], v[16:17], off
	global_load_dwordx2 v[29:30], v[13:14], off
	s_waitcnt vmcnt(0)
	v_fma_f64 v[15:16], -v[10:11], v[27:28], v[29:30]
	global_store_dwordx2 v[13:14], v[15:16], off
	s_branch .LBB15_42
.LBB15_63:
	s_or_b64 exec, exec, s[0:1]
	v_cmp_lt_i32_e32 vcc, -1, v8
	s_and_saveexec_b64 s[6:7], vcc
	s_cbranch_execz .LBB15_79
; %bb.64:
	v_mov_b32_e32 v9, 0
	v_lshlrev_b64 v[8:9], 3, v[8:9]
	v_mov_b32_e32 v0, s13
	v_add_co_u32_e32 v10, vcc, s12, v8
	v_addc_co_u32_e32 v11, vcc, v0, v9, vcc
	global_load_dwordx2 v[8:9], v[10:11], off
	s_andn2_b64 vcc, exec, s[2:3]
	v_cmp_eq_u32_e64 s[0:1], 0, v18
	s_waitcnt vmcnt(0)
	v_cmp_gt_f64_e64 s[2:3], 0, v[8:9]
	v_xor_b32_e32 v0, 0x80000000, v9
	v_mov_b32_e32 v12, v8
	v_cndmask_b32_e64 v13, v9, v0, s[2:3]
	s_mov_b64 s[2:3], -1
	s_cbranch_vccnz .LBB15_68
; %bb.65:
	v_cvt_f64_f32_e32 v[14:15], v19
	s_cmp_eq_u64 s[24:25], 8
	s_cselect_b64 vcc, -1, 0
	v_cndmask_b32_e32 v4, v15, v4, vcc
	v_cndmask_b32_e32 v3, v14, v3, vcc
	v_cmp_le_f64_e32 vcc, v[12:13], v[3:4]
	s_and_b64 s[8:9], s[0:1], vcc
	s_and_saveexec_b64 s[2:3], s[8:9]
	s_cbranch_execz .LBB15_67
; %bb.66:
	global_store_dwordx2 v[10:11], v[5:6], off
	s_waitcnt vmcnt(0)
	buffer_wbinvl1_vol
.LBB15_67:
	s_or_b64 exec, exec, s[2:3]
	s_mov_b64 s[2:3], 0
.LBB15_68:
	s_andn2_b64 vcc, exec, s[2:3]
	s_cbranch_vccnz .LBB15_79
; %bb.69:
	s_load_dwordx2 s[2:3], s[4:5], 0x48
	v_add_u32_e32 v0, s34, v7
	s_waitcnt lgkmcnt(0)
	v_cmp_ge_f64_e32 vcc, s[2:3], v[12:13]
	s_and_b64 s[4:5], s[0:1], vcc
	s_and_saveexec_b64 s[2:3], s[4:5]
	s_cbranch_execz .LBB15_74
; %bb.70:
	s_mov_b64 s[4:5], exec
	s_brev_b32 s8, -2
.LBB15_71:                              ; =>This Inner Loop Header: Depth=1
	s_ff1_i32_b64 s9, s[4:5]
	v_readlane_b32 s12, v0, s9
	s_lshl_b64 s[10:11], 1, s9
	s_min_i32 s8, s8, s12
	s_andn2_b64 s[4:5], s[4:5], s[10:11]
	s_cmp_lg_u64 s[4:5], 0
	s_cbranch_scc1 .LBB15_71
; %bb.72:
	v_mbcnt_lo_u32_b32 v3, exec_lo, 0
	v_mbcnt_hi_u32_b32 v3, exec_hi, v3
	v_cmp_eq_u32_e32 vcc, 0, v3
	s_and_saveexec_b64 s[4:5], vcc
	s_xor_b64 s[4:5], exec, s[4:5]
	s_cbranch_execz .LBB15_74
; %bb.73:
	v_mov_b32_e32 v3, 0
	v_mov_b32_e32 v4, s8
	global_atomic_smin v3, v4, s[22:23]
.LBB15_74:
	s_or_b64 exec, exec, s[2:3]
	v_cmp_eq_f64_e32 vcc, 0, v[8:9]
	s_and_b64 s[0:1], s[0:1], vcc
	s_and_b64 exec, exec, s[0:1]
	s_cbranch_execz .LBB15_79
; %bb.75:
	s_mov_b64 s[0:1], exec
	s_brev_b32 s2, -2
.LBB15_76:                              ; =>This Inner Loop Header: Depth=1
	s_ff1_i32_b64 s3, s[0:1]
	v_readlane_b32 s8, v0, s3
	s_lshl_b64 s[4:5], 1, s3
	s_min_i32 s2, s2, s8
	s_andn2_b64 s[0:1], s[0:1], s[4:5]
	s_cmp_lg_u64 s[0:1], 0
	s_cbranch_scc1 .LBB15_76
; %bb.77:
	v_mbcnt_lo_u32_b32 v0, exec_lo, 0
	v_mbcnt_hi_u32_b32 v0, exec_hi, v0
	v_cmp_eq_u32_e32 vcc, 0, v0
	s_and_saveexec_b64 s[0:1], vcc
	s_xor_b64 s[0:1], exec, s[0:1]
	s_cbranch_execz .LBB15_79
; %bb.78:
	v_mov_b32_e32 v0, 0
	v_mov_b32_e32 v3, s2
	global_atomic_smin v0, v3, s[20:21]
.LBB15_79:
	s_or_b64 exec, exec, s[6:7]
	v_cmp_eq_u32_e32 vcc, 0, v18
	s_waitcnt vmcnt(0)
	buffer_wbinvl1_vol
	s_and_b64 exec, exec, vcc
	s_cbranch_execz .LBB15_81
; %bb.80:
	v_mov_b32_e32 v3, s17
	v_add_co_u32_e32 v0, vcc, s16, v1
	v_addc_co_u32_e32 v1, vcc, v3, v2, vcc
	v_mov_b32_e32 v2, 1
	global_store_dword v[0:1], v2, off
.LBB15_81:
	s_endpgm
	.section	.rodata,"a",@progbits
	.p2align	6, 0x0
	.amdhsa_kernel _ZN9rocsparseL12csrilu0_hashILj256ELj32ELj2EdEEviPKiS2_PT2_S2_PiS2_S5_S5_d21rocsparse_index_base_imNS_24const_host_device_scalarIfEENS7_IdEENS7_IS3_EEb
		.amdhsa_group_segment_fixed_size 4096
		.amdhsa_private_segment_fixed_size 0
		.amdhsa_kernarg_size 124
		.amdhsa_user_sgpr_count 6
		.amdhsa_user_sgpr_private_segment_buffer 1
		.amdhsa_user_sgpr_dispatch_ptr 0
		.amdhsa_user_sgpr_queue_ptr 0
		.amdhsa_user_sgpr_kernarg_segment_ptr 1
		.amdhsa_user_sgpr_dispatch_id 0
		.amdhsa_user_sgpr_flat_scratch_init 0
		.amdhsa_user_sgpr_private_segment_size 0
		.amdhsa_uses_dynamic_stack 0
		.amdhsa_system_sgpr_private_segment_wavefront_offset 0
		.amdhsa_system_sgpr_workgroup_id_x 1
		.amdhsa_system_sgpr_workgroup_id_y 0
		.amdhsa_system_sgpr_workgroup_id_z 0
		.amdhsa_system_sgpr_workgroup_info 0
		.amdhsa_system_vgpr_workitem_id 0
		.amdhsa_next_free_vgpr 35
		.amdhsa_next_free_sgpr 62
		.amdhsa_reserve_vcc 1
		.amdhsa_reserve_flat_scratch 0
		.amdhsa_float_round_mode_32 0
		.amdhsa_float_round_mode_16_64 0
		.amdhsa_float_denorm_mode_32 3
		.amdhsa_float_denorm_mode_16_64 3
		.amdhsa_dx10_clamp 1
		.amdhsa_ieee_mode 1
		.amdhsa_fp16_overflow 0
		.amdhsa_exception_fp_ieee_invalid_op 0
		.amdhsa_exception_fp_denorm_src 0
		.amdhsa_exception_fp_ieee_div_zero 0
		.amdhsa_exception_fp_ieee_overflow 0
		.amdhsa_exception_fp_ieee_underflow 0
		.amdhsa_exception_fp_ieee_inexact 0
		.amdhsa_exception_int_div_zero 0
	.end_amdhsa_kernel
	.section	.text._ZN9rocsparseL12csrilu0_hashILj256ELj32ELj2EdEEviPKiS2_PT2_S2_PiS2_S5_S5_d21rocsparse_index_base_imNS_24const_host_device_scalarIfEENS7_IdEENS7_IS3_EEb,"axG",@progbits,_ZN9rocsparseL12csrilu0_hashILj256ELj32ELj2EdEEviPKiS2_PT2_S2_PiS2_S5_S5_d21rocsparse_index_base_imNS_24const_host_device_scalarIfEENS7_IdEENS7_IS3_EEb,comdat
.Lfunc_end15:
	.size	_ZN9rocsparseL12csrilu0_hashILj256ELj32ELj2EdEEviPKiS2_PT2_S2_PiS2_S5_S5_d21rocsparse_index_base_imNS_24const_host_device_scalarIfEENS7_IdEENS7_IS3_EEb, .Lfunc_end15-_ZN9rocsparseL12csrilu0_hashILj256ELj32ELj2EdEEviPKiS2_PT2_S2_PiS2_S5_S5_d21rocsparse_index_base_imNS_24const_host_device_scalarIfEENS7_IdEENS7_IS3_EEb
                                        ; -- End function
	.set _ZN9rocsparseL12csrilu0_hashILj256ELj32ELj2EdEEviPKiS2_PT2_S2_PiS2_S5_S5_d21rocsparse_index_base_imNS_24const_host_device_scalarIfEENS7_IdEENS7_IS3_EEb.num_vgpr, 35
	.set _ZN9rocsparseL12csrilu0_hashILj256ELj32ELj2EdEEviPKiS2_PT2_S2_PiS2_S5_S5_d21rocsparse_index_base_imNS_24const_host_device_scalarIfEENS7_IdEENS7_IS3_EEb.num_agpr, 0
	.set _ZN9rocsparseL12csrilu0_hashILj256ELj32ELj2EdEEviPKiS2_PT2_S2_PiS2_S5_S5_d21rocsparse_index_base_imNS_24const_host_device_scalarIfEENS7_IdEENS7_IS3_EEb.numbered_sgpr, 62
	.set _ZN9rocsparseL12csrilu0_hashILj256ELj32ELj2EdEEviPKiS2_PT2_S2_PiS2_S5_S5_d21rocsparse_index_base_imNS_24const_host_device_scalarIfEENS7_IdEENS7_IS3_EEb.num_named_barrier, 0
	.set _ZN9rocsparseL12csrilu0_hashILj256ELj32ELj2EdEEviPKiS2_PT2_S2_PiS2_S5_S5_d21rocsparse_index_base_imNS_24const_host_device_scalarIfEENS7_IdEENS7_IS3_EEb.private_seg_size, 0
	.set _ZN9rocsparseL12csrilu0_hashILj256ELj32ELj2EdEEviPKiS2_PT2_S2_PiS2_S5_S5_d21rocsparse_index_base_imNS_24const_host_device_scalarIfEENS7_IdEENS7_IS3_EEb.uses_vcc, 1
	.set _ZN9rocsparseL12csrilu0_hashILj256ELj32ELj2EdEEviPKiS2_PT2_S2_PiS2_S5_S5_d21rocsparse_index_base_imNS_24const_host_device_scalarIfEENS7_IdEENS7_IS3_EEb.uses_flat_scratch, 0
	.set _ZN9rocsparseL12csrilu0_hashILj256ELj32ELj2EdEEviPKiS2_PT2_S2_PiS2_S5_S5_d21rocsparse_index_base_imNS_24const_host_device_scalarIfEENS7_IdEENS7_IS3_EEb.has_dyn_sized_stack, 0
	.set _ZN9rocsparseL12csrilu0_hashILj256ELj32ELj2EdEEviPKiS2_PT2_S2_PiS2_S5_S5_d21rocsparse_index_base_imNS_24const_host_device_scalarIfEENS7_IdEENS7_IS3_EEb.has_recursion, 0
	.set _ZN9rocsparseL12csrilu0_hashILj256ELj32ELj2EdEEviPKiS2_PT2_S2_PiS2_S5_S5_d21rocsparse_index_base_imNS_24const_host_device_scalarIfEENS7_IdEENS7_IS3_EEb.has_indirect_call, 0
	.section	.AMDGPU.csdata,"",@progbits
; Kernel info:
; codeLenInByte = 2556
; TotalNumSgprs: 66
; NumVgprs: 35
; ScratchSize: 0
; MemoryBound: 0
; FloatMode: 240
; IeeeMode: 1
; LDSByteSize: 4096 bytes/workgroup (compile time only)
; SGPRBlocks: 8
; VGPRBlocks: 8
; NumSGPRsForWavesPerEU: 66
; NumVGPRsForWavesPerEU: 35
; Occupancy: 7
; WaveLimiterHint : 1
; COMPUTE_PGM_RSRC2:SCRATCH_EN: 0
; COMPUTE_PGM_RSRC2:USER_SGPR: 6
; COMPUTE_PGM_RSRC2:TRAP_HANDLER: 0
; COMPUTE_PGM_RSRC2:TGID_X_EN: 1
; COMPUTE_PGM_RSRC2:TGID_Y_EN: 0
; COMPUTE_PGM_RSRC2:TGID_Z_EN: 0
; COMPUTE_PGM_RSRC2:TIDIG_COMP_CNT: 0
	.section	.text._ZN9rocsparseL12csrilu0_hashILj256ELj32ELj4EdEEviPKiS2_PT2_S2_PiS2_S5_S5_d21rocsparse_index_base_imNS_24const_host_device_scalarIfEENS7_IdEENS7_IS3_EEb,"axG",@progbits,_ZN9rocsparseL12csrilu0_hashILj256ELj32ELj4EdEEviPKiS2_PT2_S2_PiS2_S5_S5_d21rocsparse_index_base_imNS_24const_host_device_scalarIfEENS7_IdEENS7_IS3_EEb,comdat
	.globl	_ZN9rocsparseL12csrilu0_hashILj256ELj32ELj4EdEEviPKiS2_PT2_S2_PiS2_S5_S5_d21rocsparse_index_base_imNS_24const_host_device_scalarIfEENS7_IdEENS7_IS3_EEb ; -- Begin function _ZN9rocsparseL12csrilu0_hashILj256ELj32ELj4EdEEviPKiS2_PT2_S2_PiS2_S5_S5_d21rocsparse_index_base_imNS_24const_host_device_scalarIfEENS7_IdEENS7_IS3_EEb
	.p2align	8
	.type	_ZN9rocsparseL12csrilu0_hashILj256ELj32ELj4EdEEviPKiS2_PT2_S2_PiS2_S5_S5_d21rocsparse_index_base_imNS_24const_host_device_scalarIfEENS7_IdEENS7_IS3_EEb,@function
_ZN9rocsparseL12csrilu0_hashILj256ELj32ELj4EdEEviPKiS2_PT2_S2_PiS2_S5_S5_d21rocsparse_index_base_imNS_24const_host_device_scalarIfEENS7_IdEENS7_IS3_EEb: ; @_ZN9rocsparseL12csrilu0_hashILj256ELj32ELj4EdEEviPKiS2_PT2_S2_PiS2_S5_S5_d21rocsparse_index_base_imNS_24const_host_device_scalarIfEENS7_IdEENS7_IS3_EEb
; %bb.0:
	s_load_dword s0, s[4:5], 0x78
	s_load_dwordx2 s[34:35], s[4:5], 0x50
	s_load_dwordx8 s[24:31], s[4:5], 0x58
	s_waitcnt lgkmcnt(0)
	s_bitcmp1_b32 s0, 0
	s_cselect_b64 s[0:1], -1, 0
	s_cmp_eq_u32 s35, 0
	s_cselect_b64 s[8:9], -1, 0
	s_cmp_lg_u32 s35, 0
	s_cselect_b64 s[2:3], -1, 0
	s_or_b64 s[0:1], s[8:9], s[0:1]
	s_xor_b64 s[10:11], s[0:1], -1
	s_and_b64 s[12:13], s[8:9], exec
	s_cselect_b32 s13, 0, s29
	s_cselect_b32 s12, 0, s28
	s_and_b64 vcc, exec, s[0:1]
	s_cbranch_vccnz .LBB16_2
; %bb.1:
	s_load_dword s0, s[26:27], 0x0
	s_mov_b64 s[12:13], s[28:29]
	s_waitcnt lgkmcnt(0)
	v_mov_b32_e32 v19, s0
	s_branch .LBB16_3
.LBB16_2:
	v_mov_b32_e32 v1, s26
	v_cndmask_b32_e64 v19, v1, 0, s[8:9]
.LBB16_3:
	v_cndmask_b32_e64 v1, 0, 1, s[10:11]
	v_mov_b32_e32 v3, s12
	v_cmp_ne_u32_e64 s[0:1], 1, v1
	s_andn2_b64 vcc, exec, s[10:11]
	v_mov_b32_e32 v4, s13
	s_cbranch_vccnz .LBB16_5
; %bb.4:
	v_mov_b32_e32 v1, s28
	v_mov_b32_e32 v2, s29
	flat_load_dwordx2 v[3:4], v[1:2]
.LBB16_5:
	s_and_b64 s[8:9], s[8:9], exec
	s_cselect_b32 s8, 0, s30
	s_cselect_b32 s9, 0, s31
	v_mov_b32_e32 v5, s8
	s_and_b64 vcc, exec, s[0:1]
	v_mov_b32_e32 v6, s9
	s_cbranch_vccnz .LBB16_7
; %bb.6:
	v_mov_b32_e32 v1, s30
	v_mov_b32_e32 v2, s31
	flat_load_dwordx2 v[5:6], v[1:2]
.LBB16_7:
	v_and_b32_e32 v18, 31, v0
	v_lshrrev_b32_e32 v1, 5, v0
	v_lshlrev_b32_e32 v7, 9, v1
	v_lshlrev_b32_e32 v8, 2, v18
	s_movk_i32 s0, 0x1000
	v_or_b32_e32 v2, 0xffffffe0, v18
	v_or3_b32 v7, v7, v8, s0
	s_mov_b64 s[0:1], 0
	v_mov_b32_e32 v8, -1
	s_movk_i32 s7, 0x5f
.LBB16_8:                               ; =>This Inner Loop Header: Depth=1
	v_add_u32_e32 v2, 32, v2
	v_cmp_lt_u32_e32 vcc, s7, v2
	ds_write_b32 v7, v8
	s_or_b64 s[0:1], vcc, s[0:1]
	v_add_u32_e32 v7, 0x80, v7
	s_andn2_b64 exec, exec, s[0:1]
	s_cbranch_execnz .LBB16_8
; %bb.9:
	s_or_b64 exec, exec, s[0:1]
	s_load_dword s0, s[4:5], 0x0
	s_lshl_b32 s1, s6, 3
	s_and_b32 s1, s1, 0x7fffff8
	v_or_b32_e32 v1, s1, v1
	s_waitcnt lgkmcnt(0)
	v_cmp_gt_i32_e32 vcc, s0, v1
	s_and_saveexec_b64 s[0:1], vcc
	s_cbranch_execz .LBB16_81
; %bb.10:
	s_load_dwordx16 s[8:23], s[4:5], 0x8
	v_lshlrev_b32_e32 v1, 2, v1
	v_lshlrev_b32_e32 v0, 4, v0
	v_and_b32_e32 v0, 0xe00, v0
	v_or_b32_e32 v20, 0x1000, v0
	s_waitcnt lgkmcnt(0)
	global_load_dword v7, v1, s[18:19]
	v_mov_b32_e32 v9, s9
	v_mov_b32_e32 v12, s15
	s_waitcnt vmcnt(0)
	v_ashrrev_i32_e32 v8, 31, v7
	v_lshlrev_b64 v[1:2], 2, v[7:8]
	v_add_co_u32_e32 v8, vcc, s8, v1
	v_addc_co_u32_e32 v9, vcc, v9, v2, vcc
	global_load_dwordx2 v[9:10], v[8:9], off
	v_add_co_u32_e32 v11, vcc, s14, v1
	v_addc_co_u32_e32 v12, vcc, v12, v2, vcc
	global_load_dword v8, v[11:12], off
	s_waitcnt vmcnt(1)
	v_subrev_u32_e32 v9, s34, v9
	v_subrev_u32_e32 v12, s34, v10
	v_add_u32_e32 v10, v9, v18
	v_cmp_lt_i32_e32 vcc, v10, v12
	s_and_saveexec_b64 s[0:1], vcc
	s_cbranch_execz .LBB16_33
; %bb.11:
	s_mov_b64 s[6:7], 0
	v_mov_b32_e32 v13, s11
	s_movk_i32 s33, 0x67
	v_mov_b32_e32 v14, -1
	s_branch .LBB16_13
.LBB16_12:                              ;   in Loop: Header=BB16_13 Depth=1
	s_or_b64 exec, exec, s[18:19]
	v_add_u32_e32 v10, 32, v10
	v_cmp_ge_i32_e32 vcc, v10, v12
	s_or_b64 s[6:7], vcc, s[6:7]
	s_andn2_b64 exec, exec, s[6:7]
	s_cbranch_execz .LBB16_33
.LBB16_13:                              ; =>This Loop Header: Depth=1
                                        ;     Child Loop BB16_22 Depth 2
	v_ashrrev_i32_e32 v11, 31, v10
	v_lshlrev_b64 v[15:16], 2, v[10:11]
	s_mov_b64 s[26:27], 0
	v_add_co_u32_e32 v15, vcc, s10, v15
	v_addc_co_u32_e32 v16, vcc, v13, v16, vcc
	global_load_dword v11, v[15:16], off
	v_mov_b32_e32 v15, 0x80
                                        ; implicit-def: $sgpr18_sgpr19
                                        ; implicit-def: $sgpr28_sgpr29
                                        ; implicit-def: $sgpr30_sgpr31
	s_waitcnt vmcnt(0)
	v_mul_lo_u32 v17, v11, s33
	s_branch .LBB16_22
.LBB16_14:                              ;   in Loop: Header=BB16_22 Depth=2
	s_or_b64 exec, exec, s[54:55]
	s_orn2_b64 s[50:51], s[50:51], exec
	s_orn2_b64 s[52:53], s[52:53], exec
.LBB16_15:                              ;   in Loop: Header=BB16_22 Depth=2
	s_or_b64 exec, exec, s[48:49]
	s_and_b64 s[50:51], s[50:51], exec
	s_orn2_b64 s[48:49], s[52:53], exec
.LBB16_16:                              ;   in Loop: Header=BB16_22 Depth=2
	s_or_b64 exec, exec, s[46:47]
	s_orn2_b64 s[50:51], s[50:51], exec
	s_orn2_b64 s[46:47], s[48:49], exec
.LBB16_17:                              ;   in Loop: Header=BB16_22 Depth=2
	s_or_b64 exec, exec, s[44:45]
	s_and_b64 s[48:49], s[50:51], exec
	s_orn2_b64 s[44:45], s[46:47], exec
.LBB16_18:                              ;   in Loop: Header=BB16_22 Depth=2
	s_or_b64 exec, exec, s[42:43]
	s_orn2_b64 s[42:43], s[48:49], exec
	s_orn2_b64 s[44:45], s[44:45], exec
.LBB16_19:                              ;   in Loop: Header=BB16_22 Depth=2
	s_or_b64 exec, exec, s[40:41]
	s_and_b64 s[42:43], s[42:43], exec
	s_orn2_b64 s[40:41], s[44:45], exec
.LBB16_20:                              ;   in Loop: Header=BB16_22 Depth=2
	s_or_b64 exec, exec, s[38:39]
	s_andn2_b64 s[30:31], s[30:31], exec
	s_and_b64 s[38:39], s[42:43], exec
	s_or_b64 s[30:31], s[30:31], s[38:39]
	s_andn2_b64 s[28:29], s[28:29], exec
	s_and_b64 s[38:39], s[40:41], exec
	s_or_b64 s[28:29], s[28:29], s[38:39]
.LBB16_21:                              ;   in Loop: Header=BB16_22 Depth=2
	s_or_b64 exec, exec, s[36:37]
	s_and_b64 s[36:37], exec, s[28:29]
	s_or_b64 s[26:27], s[36:37], s[26:27]
	s_andn2_b64 s[18:19], s[18:19], exec
	s_and_b64 s[36:37], s[30:31], exec
	s_or_b64 s[18:19], s[18:19], s[36:37]
	s_andn2_b64 exec, exec, s[26:27]
	s_cbranch_execz .LBB16_31
.LBB16_22:                              ;   Parent Loop BB16_13 Depth=1
                                        ; =>  This Inner Loop Header: Depth=2
	v_and_b32_e32 v16, 0x7f, v17
	v_lshl_add_u32 v21, v16, 2, v20
	ds_read_b32 v22, v21
	s_or_b64 s[30:31], s[30:31], exec
	s_or_b64 s[28:29], s[28:29], exec
	s_waitcnt lgkmcnt(0)
	v_cmp_ne_u32_e32 vcc, v22, v11
	s_and_saveexec_b64 s[36:37], vcc
	s_cbranch_execz .LBB16_21
; %bb.23:                               ;   in Loop: Header=BB16_22 Depth=2
	ds_cmpst_rtn_b32 v21, v21, v14, v11
	s_mov_b64 s[40:41], -1
	s_mov_b64 s[42:43], 0
	s_waitcnt lgkmcnt(0)
	v_cmp_ne_u32_e32 vcc, -1, v21
	s_and_saveexec_b64 s[38:39], vcc
	s_cbranch_execz .LBB16_20
; %bb.24:                               ;   in Loop: Header=BB16_22 Depth=2
	v_add_u32_e32 v16, 1, v17
	v_and_b32_e32 v16, 0x7f, v16
	v_lshl_add_u32 v21, v16, 2, v20
	ds_read_b32 v22, v21
	s_mov_b64 s[44:45], -1
	s_mov_b64 s[42:43], -1
	s_waitcnt lgkmcnt(0)
	v_cmp_ne_u32_e32 vcc, v22, v11
	s_and_saveexec_b64 s[40:41], vcc
	s_cbranch_execz .LBB16_19
; %bb.25:                               ;   in Loop: Header=BB16_22 Depth=2
	ds_cmpst_rtn_b32 v21, v21, v14, v11
	s_mov_b64 s[48:49], 0
	s_waitcnt lgkmcnt(0)
	v_cmp_ne_u32_e32 vcc, -1, v21
	s_and_saveexec_b64 s[42:43], vcc
	s_cbranch_execz .LBB16_18
; %bb.26:                               ;   in Loop: Header=BB16_22 Depth=2
	v_add_u32_e32 v16, 2, v17
	v_and_b32_e32 v16, 0x7f, v16
	v_lshl_add_u32 v21, v16, 2, v20
	ds_read_b32 v22, v21
	s_mov_b64 s[46:47], -1
	s_mov_b64 s[50:51], -1
	s_waitcnt lgkmcnt(0)
	v_cmp_ne_u32_e32 vcc, v22, v11
	s_and_saveexec_b64 s[44:45], vcc
	s_cbranch_execz .LBB16_17
; %bb.27:                               ;   in Loop: Header=BB16_22 Depth=2
	ds_cmpst_rtn_b32 v21, v21, v14, v11
	s_mov_b64 s[48:49], -1
	s_mov_b64 s[50:51], 0
	s_waitcnt lgkmcnt(0)
	v_cmp_ne_u32_e32 vcc, -1, v21
	s_and_saveexec_b64 s[46:47], vcc
	s_cbranch_execz .LBB16_16
; %bb.28:                               ;   in Loop: Header=BB16_22 Depth=2
	v_add_u32_e32 v16, 3, v17
	v_and_b32_e32 v16, 0x7f, v16
	v_lshl_add_u32 v21, v16, 2, v20
	ds_read_b32 v17, v21
	s_mov_b64 s[52:53], -1
	s_mov_b64 s[50:51], -1
	s_waitcnt lgkmcnt(0)
	v_cmp_ne_u32_e32 vcc, v17, v11
                                        ; implicit-def: $vgpr17
	s_and_saveexec_b64 s[48:49], vcc
	s_cbranch_execz .LBB16_15
; %bb.29:                               ;   in Loop: Header=BB16_22 Depth=2
	ds_cmpst_rtn_b32 v17, v21, v14, v11
	s_mov_b64 s[50:51], 0
	s_waitcnt lgkmcnt(0)
	v_cmp_ne_u32_e32 vcc, -1, v17
                                        ; implicit-def: $vgpr17
	s_and_saveexec_b64 s[54:55], vcc
	s_cbranch_execz .LBB16_14
; %bb.30:                               ;   in Loop: Header=BB16_22 Depth=2
	v_add_u32_e32 v15, -4, v15
	v_cmp_eq_u32_e32 vcc, 0, v15
	s_mov_b64 s[50:51], exec
	v_add_u32_e32 v17, 1, v16
	s_orn2_b64 s[52:53], vcc, exec
	s_branch .LBB16_14
.LBB16_31:                              ;   in Loop: Header=BB16_13 Depth=1
	s_or_b64 exec, exec, s[26:27]
	s_xor_b64 s[18:19], s[18:19], -1
	s_and_saveexec_b64 s[26:27], s[18:19]
	s_xor_b64 s[18:19], exec, s[26:27]
	s_cbranch_execz .LBB16_12
; %bb.32:                               ;   in Loop: Header=BB16_13 Depth=1
	v_lshl_add_u32 v11, v16, 2, v0
	ds_write_b32 v11, v10
	s_branch .LBB16_12
.LBB16_33:
	s_or_b64 exec, exec, s[0:1]
	s_waitcnt vmcnt(0)
	v_cmp_lt_i32_e32 vcc, v9, v8
	s_waitcnt lgkmcnt(0)
	s_and_saveexec_b64 s[0:1], vcc
	s_cbranch_execz .LBB16_63
; %bb.34:
	s_mov_b64 s[6:7], 0
	v_mov_b32_e32 v21, s11
	v_mov_b32_e32 v22, s13
	;; [unrolled: 1-line block ×5, first 2 shown]
	s_movk_i32 s9, 0x67
	s_branch .LBB16_37
.LBB16_35:                              ;   in Loop: Header=BB16_37 Depth=1
	s_or_b64 exec, exec, s[26:27]
	v_add_u32_e32 v9, 1, v9
	v_cmp_ge_i32_e32 vcc, v9, v8
	s_orn2_b64 s[26:27], vcc, exec
.LBB16_36:                              ;   in Loop: Header=BB16_37 Depth=1
	s_or_b64 exec, exec, s[18:19]
	s_and_b64 s[18:19], exec, s[26:27]
	s_or_b64 s[6:7], s[18:19], s[6:7]
	s_andn2_b64 exec, exec, s[6:7]
	s_cbranch_execz .LBB16_63
.LBB16_37:                              ; =>This Loop Header: Depth=1
                                        ;     Child Loop BB16_38 Depth 2
                                        ;     Child Loop BB16_43 Depth 2
                                        ;       Child Loop BB16_52 Depth 3
	v_ashrrev_i32_e32 v10, 31, v9
	v_lshlrev_b64 v[11:12], 2, v[9:10]
	s_mov_b64 s[18:19], 0
	v_add_co_u32_e32 v11, vcc, s10, v11
	v_addc_co_u32_e32 v12, vcc, v21, v12, vcc
	global_load_dword v12, v[11:12], off
	v_lshlrev_b64 v[10:11], 3, v[9:10]
	v_add_co_u32_e32 v13, vcc, s12, v10
	v_addc_co_u32_e32 v14, vcc, v22, v11, vcc
	global_load_dwordx2 v[10:11], v[13:14], off
	s_waitcnt vmcnt(1)
	v_subrev_u32_e32 v15, s34, v12
	v_ashrrev_i32_e32 v16, 31, v15
	v_lshlrev_b64 v[15:16], 2, v[15:16]
	v_add_co_u32_e32 v26, vcc, s8, v15
	v_addc_co_u32_e32 v27, vcc, v23, v16, vcc
	v_add_co_u32_e32 v28, vcc, s14, v15
	v_addc_co_u32_e32 v29, vcc, v24, v16, vcc
	global_load_dword v12, v[26:27], off offset:4
	global_load_dword v17, v[28:29], off
	v_add_co_u32_e32 v15, vcc, s16, v15
	v_addc_co_u32_e32 v16, vcc, v25, v16, vcc
.LBB16_38:                              ;   Parent Loop BB16_37 Depth=1
                                        ; =>  This Inner Loop Header: Depth=2
	global_load_dword v26, v[15:16], off glc
	s_waitcnt vmcnt(0)
	v_cmp_ne_u32_e32 vcc, 0, v26
	s_or_b64 s[18:19], vcc, s[18:19]
	s_andn2_b64 exec, exec, s[18:19]
	s_cbranch_execnz .LBB16_38
; %bb.39:                               ;   in Loop: Header=BB16_37 Depth=1
	s_or_b64 exec, exec, s[18:19]
	v_subrev_u32_e32 v26, s34, v12
	v_add_u32_e32 v12, -1, v26
	v_cmp_eq_u32_e32 vcc, -1, v17
	v_cndmask_b32_e32 v15, v17, v12, vcc
	v_ashrrev_i32_e32 v16, 31, v15
	v_lshlrev_b64 v[16:17], 3, v[15:16]
	buffer_wbinvl1_vol
	v_add_co_u32_e32 v16, vcc, s12, v16
	v_addc_co_u32_e32 v17, vcc, v22, v17, vcc
	global_load_dwordx2 v[16:17], v[16:17], off
	s_mov_b64 s[26:27], -1
	s_waitcnt vmcnt(0)
	v_cmp_neq_f64_e32 vcc, 0, v[16:17]
	s_and_saveexec_b64 s[18:19], vcc
	s_cbranch_execz .LBB16_36
; %bb.40:                               ;   in Loop: Header=BB16_37 Depth=1
	v_div_scale_f64 v[27:28], s[26:27], v[16:17], v[16:17], v[10:11]
	v_add_u32_e32 v12, 1, v18
	v_add_u32_e32 v12, v12, v15
	v_rcp_f64_e32 v[29:30], v[27:28]
	v_fma_f64 v[31:32], -v[27:28], v[29:30], 1.0
	v_fma_f64 v[29:30], v[29:30], v[31:32], v[29:30]
	v_div_scale_f64 v[31:32], vcc, v[10:11], v[16:17], v[10:11]
	v_fma_f64 v[33:34], -v[27:28], v[29:30], 1.0
	v_fma_f64 v[29:30], v[29:30], v[33:34], v[29:30]
	v_mul_f64 v[33:34], v[31:32], v[29:30]
	v_fma_f64 v[27:28], -v[27:28], v[33:34], v[31:32]
	v_div_fmas_f64 v[27:28], v[27:28], v[29:30], v[33:34]
	v_cmp_lt_i32_e32 vcc, v12, v26
	v_div_fixup_f64 v[10:11], v[27:28], v[16:17], v[10:11]
	global_store_dwordx2 v[13:14], v[10:11], off
	s_and_saveexec_b64 s[26:27], vcc
	s_cbranch_execz .LBB16_35
; %bb.41:                               ;   in Loop: Header=BB16_37 Depth=1
	s_mov_b64 s[28:29], 0
	s_branch .LBB16_43
.LBB16_42:                              ;   in Loop: Header=BB16_43 Depth=2
	s_or_b64 exec, exec, s[30:31]
	v_add_u32_e32 v12, 32, v12
	v_cmp_ge_i32_e32 vcc, v12, v26
	s_or_b64 s[28:29], vcc, s[28:29]
	s_andn2_b64 exec, exec, s[28:29]
	s_cbranch_execz .LBB16_35
.LBB16_43:                              ;   Parent Loop BB16_37 Depth=1
                                        ; =>  This Loop Header: Depth=2
                                        ;       Child Loop BB16_52 Depth 3
	v_ashrrev_i32_e32 v13, 31, v12
	v_lshlrev_b64 v[14:15], 2, v[12:13]
	s_mov_b64 s[36:37], 0
	v_add_co_u32_e32 v14, vcc, s10, v14
	v_addc_co_u32_e32 v15, vcc, v21, v15, vcc
	global_load_dword v14, v[14:15], off
	v_mov_b32_e32 v15, 0x80
                                        ; implicit-def: $sgpr30_sgpr31
                                        ; implicit-def: $sgpr38_sgpr39
                                        ; implicit-def: $sgpr40_sgpr41
	s_waitcnt vmcnt(0)
	v_mul_lo_u32 v17, v14, s9
	s_branch .LBB16_52
.LBB16_44:                              ;   in Loop: Header=BB16_52 Depth=3
	s_or_b64 exec, exec, s[60:61]
	s_orn2_b64 s[56:57], s[56:57], exec
	s_orn2_b64 s[58:59], s[58:59], exec
.LBB16_45:                              ;   in Loop: Header=BB16_52 Depth=3
	s_or_b64 exec, exec, s[54:55]
	s_and_b64 s[56:57], s[56:57], exec
	s_orn2_b64 s[54:55], s[58:59], exec
.LBB16_46:                              ;   in Loop: Header=BB16_52 Depth=3
	s_or_b64 exec, exec, s[52:53]
	s_orn2_b64 s[56:57], s[56:57], exec
	s_orn2_b64 s[52:53], s[54:55], exec
.LBB16_47:                              ;   in Loop: Header=BB16_52 Depth=3
	s_or_b64 exec, exec, s[50:51]
	s_and_b64 s[54:55], s[56:57], exec
	s_orn2_b64 s[50:51], s[52:53], exec
.LBB16_48:                              ;   in Loop: Header=BB16_52 Depth=3
	s_or_b64 exec, exec, s[48:49]
	s_orn2_b64 s[48:49], s[54:55], exec
	s_orn2_b64 s[50:51], s[50:51], exec
.LBB16_49:                              ;   in Loop: Header=BB16_52 Depth=3
	s_or_b64 exec, exec, s[46:47]
	s_and_b64 s[48:49], s[48:49], exec
	s_orn2_b64 s[46:47], s[50:51], exec
.LBB16_50:                              ;   in Loop: Header=BB16_52 Depth=3
	s_or_b64 exec, exec, s[44:45]
	s_andn2_b64 s[40:41], s[40:41], exec
	s_and_b64 s[44:45], s[48:49], exec
	s_or_b64 s[40:41], s[40:41], s[44:45]
	s_andn2_b64 s[38:39], s[38:39], exec
	s_and_b64 s[44:45], s[46:47], exec
	s_or_b64 s[38:39], s[38:39], s[44:45]
.LBB16_51:                              ;   in Loop: Header=BB16_52 Depth=3
	s_or_b64 exec, exec, s[42:43]
	s_and_b64 s[42:43], exec, s[38:39]
	s_or_b64 s[36:37], s[42:43], s[36:37]
	s_andn2_b64 s[30:31], s[30:31], exec
	s_and_b64 s[42:43], s[40:41], exec
	s_or_b64 s[30:31], s[30:31], s[42:43]
	s_andn2_b64 exec, exec, s[36:37]
	s_cbranch_execz .LBB16_61
.LBB16_52:                              ;   Parent Loop BB16_37 Depth=1
                                        ;     Parent Loop BB16_43 Depth=2
                                        ; =>    This Inner Loop Header: Depth=3
	v_and_b32_e32 v16, 0x7f, v17
	v_lshl_add_u32 v27, v16, 2, v20
	ds_read_b32 v27, v27
	s_or_b64 s[40:41], s[40:41], exec
	s_or_b64 s[38:39], s[38:39], exec
	s_waitcnt lgkmcnt(0)
	v_cmp_ne_u32_e32 vcc, -1, v27
	s_and_saveexec_b64 s[42:43], vcc
	s_cbranch_execz .LBB16_51
; %bb.53:                               ;   in Loop: Header=BB16_52 Depth=3
	v_cmp_ne_u32_e32 vcc, v27, v14
	s_mov_b64 s[46:47], -1
	s_mov_b64 s[48:49], 0
	s_and_saveexec_b64 s[44:45], vcc
	s_cbranch_execz .LBB16_50
; %bb.54:                               ;   in Loop: Header=BB16_52 Depth=3
	v_add_u32_e32 v16, 1, v17
	v_and_b32_e32 v16, 0x7f, v16
	v_lshl_add_u32 v27, v16, 2, v20
	ds_read_b32 v27, v27
	s_mov_b64 s[50:51], -1
	s_mov_b64 s[48:49], -1
	s_waitcnt lgkmcnt(0)
	v_cmp_ne_u32_e32 vcc, -1, v27
	s_and_saveexec_b64 s[46:47], vcc
	s_cbranch_execz .LBB16_49
; %bb.55:                               ;   in Loop: Header=BB16_52 Depth=3
	v_cmp_ne_u32_e32 vcc, v27, v14
	s_mov_b64 s[54:55], 0
	s_and_saveexec_b64 s[48:49], vcc
	s_cbranch_execz .LBB16_48
; %bb.56:                               ;   in Loop: Header=BB16_52 Depth=3
	v_add_u32_e32 v16, 2, v17
	v_and_b32_e32 v16, 0x7f, v16
	v_lshl_add_u32 v27, v16, 2, v20
	ds_read_b32 v27, v27
	s_mov_b64 s[52:53], -1
	s_mov_b64 s[56:57], -1
	s_waitcnt lgkmcnt(0)
	v_cmp_ne_u32_e32 vcc, -1, v27
	s_and_saveexec_b64 s[50:51], vcc
	s_cbranch_execz .LBB16_47
; %bb.57:                               ;   in Loop: Header=BB16_52 Depth=3
	v_cmp_ne_u32_e32 vcc, v27, v14
	s_mov_b64 s[54:55], -1
	s_mov_b64 s[56:57], 0
	s_and_saveexec_b64 s[52:53], vcc
	s_cbranch_execz .LBB16_46
; %bb.58:                               ;   in Loop: Header=BB16_52 Depth=3
	v_add_u32_e32 v16, 3, v17
	v_and_b32_e32 v16, 0x7f, v16
	v_lshl_add_u32 v17, v16, 2, v20
	ds_read_b32 v27, v17
	s_mov_b64 s[58:59], -1
	s_mov_b64 s[56:57], -1
                                        ; implicit-def: $vgpr17
	s_waitcnt lgkmcnt(0)
	v_cmp_ne_u32_e32 vcc, -1, v27
	s_and_saveexec_b64 s[54:55], vcc
	s_cbranch_execz .LBB16_45
; %bb.59:                               ;   in Loop: Header=BB16_52 Depth=3
	v_cmp_ne_u32_e32 vcc, v27, v14
	s_mov_b64 s[56:57], 0
                                        ; implicit-def: $vgpr17
	s_and_saveexec_b64 s[60:61], vcc
	s_cbranch_execz .LBB16_44
; %bb.60:                               ;   in Loop: Header=BB16_52 Depth=3
	v_add_u32_e32 v15, -4, v15
	v_cmp_eq_u32_e32 vcc, 0, v15
	s_mov_b64 s[56:57], exec
	v_add_u32_e32 v17, 1, v16
	s_orn2_b64 s[58:59], vcc, exec
	s_branch .LBB16_44
.LBB16_61:                              ;   in Loop: Header=BB16_43 Depth=2
	s_or_b64 exec, exec, s[36:37]
	s_xor_b64 s[30:31], s[30:31], -1
	s_and_saveexec_b64 s[36:37], s[30:31]
	s_xor_b64 s[30:31], exec, s[36:37]
	s_cbranch_execz .LBB16_42
; %bb.62:                               ;   in Loop: Header=BB16_43 Depth=2
	v_lshl_add_u32 v14, v16, 2, v0
	ds_read_b32 v14, v14
	v_lshlrev_b64 v[16:17], 3, v[12:13]
	v_add_co_u32_e32 v16, vcc, s12, v16
	s_waitcnt lgkmcnt(0)
	v_ashrrev_i32_e32 v15, 31, v14
	v_lshlrev_b64 v[13:14], 3, v[14:15]
	v_addc_co_u32_e32 v17, vcc, v22, v17, vcc
	v_add_co_u32_e32 v13, vcc, s12, v13
	v_addc_co_u32_e32 v14, vcc, v22, v14, vcc
	global_load_dwordx2 v[27:28], v[16:17], off
	global_load_dwordx2 v[29:30], v[13:14], off
	s_waitcnt vmcnt(0)
	v_fma_f64 v[15:16], -v[10:11], v[27:28], v[29:30]
	global_store_dwordx2 v[13:14], v[15:16], off
	s_branch .LBB16_42
.LBB16_63:
	s_or_b64 exec, exec, s[0:1]
	v_cmp_lt_i32_e32 vcc, -1, v8
	s_and_saveexec_b64 s[6:7], vcc
	s_cbranch_execz .LBB16_79
; %bb.64:
	v_mov_b32_e32 v9, 0
	v_lshlrev_b64 v[8:9], 3, v[8:9]
	v_mov_b32_e32 v0, s13
	v_add_co_u32_e32 v10, vcc, s12, v8
	v_addc_co_u32_e32 v11, vcc, v0, v9, vcc
	global_load_dwordx2 v[8:9], v[10:11], off
	s_andn2_b64 vcc, exec, s[2:3]
	v_cmp_eq_u32_e64 s[0:1], 0, v18
	s_waitcnt vmcnt(0)
	v_cmp_gt_f64_e64 s[2:3], 0, v[8:9]
	v_xor_b32_e32 v0, 0x80000000, v9
	v_mov_b32_e32 v12, v8
	v_cndmask_b32_e64 v13, v9, v0, s[2:3]
	s_mov_b64 s[2:3], -1
	s_cbranch_vccnz .LBB16_68
; %bb.65:
	v_cvt_f64_f32_e32 v[14:15], v19
	s_cmp_eq_u64 s[24:25], 8
	s_cselect_b64 vcc, -1, 0
	v_cndmask_b32_e32 v4, v15, v4, vcc
	v_cndmask_b32_e32 v3, v14, v3, vcc
	v_cmp_le_f64_e32 vcc, v[12:13], v[3:4]
	s_and_b64 s[8:9], s[0:1], vcc
	s_and_saveexec_b64 s[2:3], s[8:9]
	s_cbranch_execz .LBB16_67
; %bb.66:
	global_store_dwordx2 v[10:11], v[5:6], off
	s_waitcnt vmcnt(0)
	buffer_wbinvl1_vol
.LBB16_67:
	s_or_b64 exec, exec, s[2:3]
	s_mov_b64 s[2:3], 0
.LBB16_68:
	s_andn2_b64 vcc, exec, s[2:3]
	s_cbranch_vccnz .LBB16_79
; %bb.69:
	s_load_dwordx2 s[2:3], s[4:5], 0x48
	v_add_u32_e32 v0, s34, v7
	s_waitcnt lgkmcnt(0)
	v_cmp_ge_f64_e32 vcc, s[2:3], v[12:13]
	s_and_b64 s[4:5], s[0:1], vcc
	s_and_saveexec_b64 s[2:3], s[4:5]
	s_cbranch_execz .LBB16_74
; %bb.70:
	s_mov_b64 s[4:5], exec
	s_brev_b32 s8, -2
.LBB16_71:                              ; =>This Inner Loop Header: Depth=1
	s_ff1_i32_b64 s9, s[4:5]
	v_readlane_b32 s12, v0, s9
	s_lshl_b64 s[10:11], 1, s9
	s_min_i32 s8, s8, s12
	s_andn2_b64 s[4:5], s[4:5], s[10:11]
	s_cmp_lg_u64 s[4:5], 0
	s_cbranch_scc1 .LBB16_71
; %bb.72:
	v_mbcnt_lo_u32_b32 v3, exec_lo, 0
	v_mbcnt_hi_u32_b32 v3, exec_hi, v3
	v_cmp_eq_u32_e32 vcc, 0, v3
	s_and_saveexec_b64 s[4:5], vcc
	s_xor_b64 s[4:5], exec, s[4:5]
	s_cbranch_execz .LBB16_74
; %bb.73:
	v_mov_b32_e32 v3, 0
	v_mov_b32_e32 v4, s8
	global_atomic_smin v3, v4, s[22:23]
.LBB16_74:
	s_or_b64 exec, exec, s[2:3]
	v_cmp_eq_f64_e32 vcc, 0, v[8:9]
	s_and_b64 s[0:1], s[0:1], vcc
	s_and_b64 exec, exec, s[0:1]
	s_cbranch_execz .LBB16_79
; %bb.75:
	s_mov_b64 s[0:1], exec
	s_brev_b32 s2, -2
.LBB16_76:                              ; =>This Inner Loop Header: Depth=1
	s_ff1_i32_b64 s3, s[0:1]
	v_readlane_b32 s8, v0, s3
	s_lshl_b64 s[4:5], 1, s3
	s_min_i32 s2, s2, s8
	s_andn2_b64 s[0:1], s[0:1], s[4:5]
	s_cmp_lg_u64 s[0:1], 0
	s_cbranch_scc1 .LBB16_76
; %bb.77:
	v_mbcnt_lo_u32_b32 v0, exec_lo, 0
	v_mbcnt_hi_u32_b32 v0, exec_hi, v0
	v_cmp_eq_u32_e32 vcc, 0, v0
	s_and_saveexec_b64 s[0:1], vcc
	s_xor_b64 s[0:1], exec, s[0:1]
	s_cbranch_execz .LBB16_79
; %bb.78:
	v_mov_b32_e32 v0, 0
	v_mov_b32_e32 v3, s2
	global_atomic_smin v0, v3, s[20:21]
.LBB16_79:
	s_or_b64 exec, exec, s[6:7]
	v_cmp_eq_u32_e32 vcc, 0, v18
	s_waitcnt vmcnt(0)
	buffer_wbinvl1_vol
	s_and_b64 exec, exec, vcc
	s_cbranch_execz .LBB16_81
; %bb.80:
	v_mov_b32_e32 v3, s17
	v_add_co_u32_e32 v0, vcc, s16, v1
	v_addc_co_u32_e32 v1, vcc, v3, v2, vcc
	v_mov_b32_e32 v2, 1
	global_store_dword v[0:1], v2, off
.LBB16_81:
	s_endpgm
	.section	.rodata,"a",@progbits
	.p2align	6, 0x0
	.amdhsa_kernel _ZN9rocsparseL12csrilu0_hashILj256ELj32ELj4EdEEviPKiS2_PT2_S2_PiS2_S5_S5_d21rocsparse_index_base_imNS_24const_host_device_scalarIfEENS7_IdEENS7_IS3_EEb
		.amdhsa_group_segment_fixed_size 8192
		.amdhsa_private_segment_fixed_size 0
		.amdhsa_kernarg_size 124
		.amdhsa_user_sgpr_count 6
		.amdhsa_user_sgpr_private_segment_buffer 1
		.amdhsa_user_sgpr_dispatch_ptr 0
		.amdhsa_user_sgpr_queue_ptr 0
		.amdhsa_user_sgpr_kernarg_segment_ptr 1
		.amdhsa_user_sgpr_dispatch_id 0
		.amdhsa_user_sgpr_flat_scratch_init 0
		.amdhsa_user_sgpr_private_segment_size 0
		.amdhsa_uses_dynamic_stack 0
		.amdhsa_system_sgpr_private_segment_wavefront_offset 0
		.amdhsa_system_sgpr_workgroup_id_x 1
		.amdhsa_system_sgpr_workgroup_id_y 0
		.amdhsa_system_sgpr_workgroup_id_z 0
		.amdhsa_system_sgpr_workgroup_info 0
		.amdhsa_system_vgpr_workitem_id 0
		.amdhsa_next_free_vgpr 35
		.amdhsa_next_free_sgpr 62
		.amdhsa_reserve_vcc 1
		.amdhsa_reserve_flat_scratch 0
		.amdhsa_float_round_mode_32 0
		.amdhsa_float_round_mode_16_64 0
		.amdhsa_float_denorm_mode_32 3
		.amdhsa_float_denorm_mode_16_64 3
		.amdhsa_dx10_clamp 1
		.amdhsa_ieee_mode 1
		.amdhsa_fp16_overflow 0
		.amdhsa_exception_fp_ieee_invalid_op 0
		.amdhsa_exception_fp_denorm_src 0
		.amdhsa_exception_fp_ieee_div_zero 0
		.amdhsa_exception_fp_ieee_overflow 0
		.amdhsa_exception_fp_ieee_underflow 0
		.amdhsa_exception_fp_ieee_inexact 0
		.amdhsa_exception_int_div_zero 0
	.end_amdhsa_kernel
	.section	.text._ZN9rocsparseL12csrilu0_hashILj256ELj32ELj4EdEEviPKiS2_PT2_S2_PiS2_S5_S5_d21rocsparse_index_base_imNS_24const_host_device_scalarIfEENS7_IdEENS7_IS3_EEb,"axG",@progbits,_ZN9rocsparseL12csrilu0_hashILj256ELj32ELj4EdEEviPKiS2_PT2_S2_PiS2_S5_S5_d21rocsparse_index_base_imNS_24const_host_device_scalarIfEENS7_IdEENS7_IS3_EEb,comdat
.Lfunc_end16:
	.size	_ZN9rocsparseL12csrilu0_hashILj256ELj32ELj4EdEEviPKiS2_PT2_S2_PiS2_S5_S5_d21rocsparse_index_base_imNS_24const_host_device_scalarIfEENS7_IdEENS7_IS3_EEb, .Lfunc_end16-_ZN9rocsparseL12csrilu0_hashILj256ELj32ELj4EdEEviPKiS2_PT2_S2_PiS2_S5_S5_d21rocsparse_index_base_imNS_24const_host_device_scalarIfEENS7_IdEENS7_IS3_EEb
                                        ; -- End function
	.set _ZN9rocsparseL12csrilu0_hashILj256ELj32ELj4EdEEviPKiS2_PT2_S2_PiS2_S5_S5_d21rocsparse_index_base_imNS_24const_host_device_scalarIfEENS7_IdEENS7_IS3_EEb.num_vgpr, 35
	.set _ZN9rocsparseL12csrilu0_hashILj256ELj32ELj4EdEEviPKiS2_PT2_S2_PiS2_S5_S5_d21rocsparse_index_base_imNS_24const_host_device_scalarIfEENS7_IdEENS7_IS3_EEb.num_agpr, 0
	.set _ZN9rocsparseL12csrilu0_hashILj256ELj32ELj4EdEEviPKiS2_PT2_S2_PiS2_S5_S5_d21rocsparse_index_base_imNS_24const_host_device_scalarIfEENS7_IdEENS7_IS3_EEb.numbered_sgpr, 62
	.set _ZN9rocsparseL12csrilu0_hashILj256ELj32ELj4EdEEviPKiS2_PT2_S2_PiS2_S5_S5_d21rocsparse_index_base_imNS_24const_host_device_scalarIfEENS7_IdEENS7_IS3_EEb.num_named_barrier, 0
	.set _ZN9rocsparseL12csrilu0_hashILj256ELj32ELj4EdEEviPKiS2_PT2_S2_PiS2_S5_S5_d21rocsparse_index_base_imNS_24const_host_device_scalarIfEENS7_IdEENS7_IS3_EEb.private_seg_size, 0
	.set _ZN9rocsparseL12csrilu0_hashILj256ELj32ELj4EdEEviPKiS2_PT2_S2_PiS2_S5_S5_d21rocsparse_index_base_imNS_24const_host_device_scalarIfEENS7_IdEENS7_IS3_EEb.uses_vcc, 1
	.set _ZN9rocsparseL12csrilu0_hashILj256ELj32ELj4EdEEviPKiS2_PT2_S2_PiS2_S5_S5_d21rocsparse_index_base_imNS_24const_host_device_scalarIfEENS7_IdEENS7_IS3_EEb.uses_flat_scratch, 0
	.set _ZN9rocsparseL12csrilu0_hashILj256ELj32ELj4EdEEviPKiS2_PT2_S2_PiS2_S5_S5_d21rocsparse_index_base_imNS_24const_host_device_scalarIfEENS7_IdEENS7_IS3_EEb.has_dyn_sized_stack, 0
	.set _ZN9rocsparseL12csrilu0_hashILj256ELj32ELj4EdEEviPKiS2_PT2_S2_PiS2_S5_S5_d21rocsparse_index_base_imNS_24const_host_device_scalarIfEENS7_IdEENS7_IS3_EEb.has_recursion, 0
	.set _ZN9rocsparseL12csrilu0_hashILj256ELj32ELj4EdEEviPKiS2_PT2_S2_PiS2_S5_S5_d21rocsparse_index_base_imNS_24const_host_device_scalarIfEENS7_IdEENS7_IS3_EEb.has_indirect_call, 0
	.section	.AMDGPU.csdata,"",@progbits
; Kernel info:
; codeLenInByte = 2600
; TotalNumSgprs: 66
; NumVgprs: 35
; ScratchSize: 0
; MemoryBound: 0
; FloatMode: 240
; IeeeMode: 1
; LDSByteSize: 8192 bytes/workgroup (compile time only)
; SGPRBlocks: 8
; VGPRBlocks: 8
; NumSGPRsForWavesPerEU: 66
; NumVGPRsForWavesPerEU: 35
; Occupancy: 7
; WaveLimiterHint : 1
; COMPUTE_PGM_RSRC2:SCRATCH_EN: 0
; COMPUTE_PGM_RSRC2:USER_SGPR: 6
; COMPUTE_PGM_RSRC2:TRAP_HANDLER: 0
; COMPUTE_PGM_RSRC2:TGID_X_EN: 1
; COMPUTE_PGM_RSRC2:TGID_Y_EN: 0
; COMPUTE_PGM_RSRC2:TGID_Z_EN: 0
; COMPUTE_PGM_RSRC2:TIDIG_COMP_CNT: 0
	.section	.text._ZN9rocsparseL12csrilu0_hashILj256ELj32ELj8EdEEviPKiS2_PT2_S2_PiS2_S5_S5_d21rocsparse_index_base_imNS_24const_host_device_scalarIfEENS7_IdEENS7_IS3_EEb,"axG",@progbits,_ZN9rocsparseL12csrilu0_hashILj256ELj32ELj8EdEEviPKiS2_PT2_S2_PiS2_S5_S5_d21rocsparse_index_base_imNS_24const_host_device_scalarIfEENS7_IdEENS7_IS3_EEb,comdat
	.globl	_ZN9rocsparseL12csrilu0_hashILj256ELj32ELj8EdEEviPKiS2_PT2_S2_PiS2_S5_S5_d21rocsparse_index_base_imNS_24const_host_device_scalarIfEENS7_IdEENS7_IS3_EEb ; -- Begin function _ZN9rocsparseL12csrilu0_hashILj256ELj32ELj8EdEEviPKiS2_PT2_S2_PiS2_S5_S5_d21rocsparse_index_base_imNS_24const_host_device_scalarIfEENS7_IdEENS7_IS3_EEb
	.p2align	8
	.type	_ZN9rocsparseL12csrilu0_hashILj256ELj32ELj8EdEEviPKiS2_PT2_S2_PiS2_S5_S5_d21rocsparse_index_base_imNS_24const_host_device_scalarIfEENS7_IdEENS7_IS3_EEb,@function
_ZN9rocsparseL12csrilu0_hashILj256ELj32ELj8EdEEviPKiS2_PT2_S2_PiS2_S5_S5_d21rocsparse_index_base_imNS_24const_host_device_scalarIfEENS7_IdEENS7_IS3_EEb: ; @_ZN9rocsparseL12csrilu0_hashILj256ELj32ELj8EdEEviPKiS2_PT2_S2_PiS2_S5_S5_d21rocsparse_index_base_imNS_24const_host_device_scalarIfEENS7_IdEENS7_IS3_EEb
; %bb.0:
	s_load_dword s0, s[4:5], 0x78
	s_load_dwordx2 s[34:35], s[4:5], 0x50
	s_load_dwordx8 s[24:31], s[4:5], 0x58
	s_waitcnt lgkmcnt(0)
	s_bitcmp1_b32 s0, 0
	s_cselect_b64 s[0:1], -1, 0
	s_cmp_eq_u32 s35, 0
	s_cselect_b64 s[8:9], -1, 0
	s_cmp_lg_u32 s35, 0
	s_cselect_b64 s[2:3], -1, 0
	s_or_b64 s[0:1], s[8:9], s[0:1]
	s_xor_b64 s[10:11], s[0:1], -1
	s_and_b64 s[12:13], s[8:9], exec
	s_cselect_b32 s13, 0, s29
	s_cselect_b32 s12, 0, s28
	s_and_b64 vcc, exec, s[0:1]
	s_cbranch_vccnz .LBB17_2
; %bb.1:
	s_load_dword s0, s[26:27], 0x0
	s_mov_b64 s[12:13], s[28:29]
	s_waitcnt lgkmcnt(0)
	v_mov_b32_e32 v19, s0
	s_branch .LBB17_3
.LBB17_2:
	v_mov_b32_e32 v1, s26
	v_cndmask_b32_e64 v19, v1, 0, s[8:9]
.LBB17_3:
	v_cndmask_b32_e64 v1, 0, 1, s[10:11]
	v_mov_b32_e32 v3, s12
	v_cmp_ne_u32_e64 s[0:1], 1, v1
	s_andn2_b64 vcc, exec, s[10:11]
	v_mov_b32_e32 v4, s13
	s_cbranch_vccnz .LBB17_5
; %bb.4:
	v_mov_b32_e32 v1, s28
	v_mov_b32_e32 v2, s29
	flat_load_dwordx2 v[3:4], v[1:2]
.LBB17_5:
	s_and_b64 s[8:9], s[8:9], exec
	s_cselect_b32 s8, 0, s30
	s_cselect_b32 s9, 0, s31
	v_mov_b32_e32 v5, s8
	s_and_b64 vcc, exec, s[0:1]
	v_mov_b32_e32 v6, s9
	s_cbranch_vccnz .LBB17_7
; %bb.6:
	v_mov_b32_e32 v1, s30
	v_mov_b32_e32 v2, s31
	flat_load_dwordx2 v[5:6], v[1:2]
.LBB17_7:
	v_and_b32_e32 v18, 31, v0
	v_lshrrev_b32_e32 v1, 5, v0
	v_lshlrev_b32_e32 v7, 10, v1
	v_lshlrev_b32_e32 v8, 2, v18
	s_movk_i32 s0, 0x2000
	v_or_b32_e32 v2, 0xffffffe0, v18
	v_or3_b32 v7, v7, v8, s0
	s_mov_b64 s[0:1], 0
	v_mov_b32_e32 v8, -1
	s_movk_i32 s7, 0xdf
.LBB17_8:                               ; =>This Inner Loop Header: Depth=1
	v_add_u32_e32 v2, 32, v2
	v_cmp_lt_u32_e32 vcc, s7, v2
	ds_write_b32 v7, v8
	s_or_b64 s[0:1], vcc, s[0:1]
	v_add_u32_e32 v7, 0x80, v7
	s_andn2_b64 exec, exec, s[0:1]
	s_cbranch_execnz .LBB17_8
; %bb.9:
	s_or_b64 exec, exec, s[0:1]
	s_load_dword s0, s[4:5], 0x0
	s_lshl_b32 s1, s6, 3
	s_and_b32 s1, s1, 0x7fffff8
	v_or_b32_e32 v1, s1, v1
	s_waitcnt lgkmcnt(0)
	v_cmp_gt_i32_e32 vcc, s0, v1
	s_and_saveexec_b64 s[0:1], vcc
	s_cbranch_execz .LBB17_81
; %bb.10:
	s_load_dwordx16 s[8:23], s[4:5], 0x8
	v_lshlrev_b32_e32 v1, 2, v1
	v_lshlrev_b32_e32 v0, 5, v0
	v_and_b32_e32 v0, 0x1c00, v0
	v_or_b32_e32 v20, 0x2000, v0
	s_waitcnt lgkmcnt(0)
	global_load_dword v7, v1, s[18:19]
	v_mov_b32_e32 v9, s9
	v_mov_b32_e32 v12, s15
	s_waitcnt vmcnt(0)
	v_ashrrev_i32_e32 v8, 31, v7
	v_lshlrev_b64 v[1:2], 2, v[7:8]
	v_add_co_u32_e32 v8, vcc, s8, v1
	v_addc_co_u32_e32 v9, vcc, v9, v2, vcc
	global_load_dwordx2 v[9:10], v[8:9], off
	v_add_co_u32_e32 v11, vcc, s14, v1
	v_addc_co_u32_e32 v12, vcc, v12, v2, vcc
	global_load_dword v8, v[11:12], off
	s_waitcnt vmcnt(1)
	v_subrev_u32_e32 v9, s34, v9
	v_subrev_u32_e32 v12, s34, v10
	v_add_u32_e32 v10, v9, v18
	v_cmp_lt_i32_e32 vcc, v10, v12
	s_and_saveexec_b64 s[0:1], vcc
	s_cbranch_execz .LBB17_33
; %bb.11:
	s_mov_b64 s[6:7], 0
	v_mov_b32_e32 v13, s11
	s_movk_i32 s33, 0x67
	v_mov_b32_e32 v14, -1
	s_branch .LBB17_13
.LBB17_12:                              ;   in Loop: Header=BB17_13 Depth=1
	s_or_b64 exec, exec, s[18:19]
	v_add_u32_e32 v10, 32, v10
	v_cmp_ge_i32_e32 vcc, v10, v12
	s_or_b64 s[6:7], vcc, s[6:7]
	s_andn2_b64 exec, exec, s[6:7]
	s_cbranch_execz .LBB17_33
.LBB17_13:                              ; =>This Loop Header: Depth=1
                                        ;     Child Loop BB17_22 Depth 2
	v_ashrrev_i32_e32 v11, 31, v10
	v_lshlrev_b64 v[15:16], 2, v[10:11]
	s_mov_b64 s[26:27], 0
	v_add_co_u32_e32 v15, vcc, s10, v15
	v_addc_co_u32_e32 v16, vcc, v13, v16, vcc
	global_load_dword v11, v[15:16], off
	v_mov_b32_e32 v15, 0x100
                                        ; implicit-def: $sgpr18_sgpr19
                                        ; implicit-def: $sgpr28_sgpr29
                                        ; implicit-def: $sgpr30_sgpr31
	s_waitcnt vmcnt(0)
	v_mul_lo_u32 v17, v11, s33
	s_branch .LBB17_22
.LBB17_14:                              ;   in Loop: Header=BB17_22 Depth=2
	s_or_b64 exec, exec, s[54:55]
	s_orn2_b64 s[50:51], s[50:51], exec
	s_orn2_b64 s[52:53], s[52:53], exec
.LBB17_15:                              ;   in Loop: Header=BB17_22 Depth=2
	s_or_b64 exec, exec, s[48:49]
	s_and_b64 s[50:51], s[50:51], exec
	s_orn2_b64 s[48:49], s[52:53], exec
.LBB17_16:                              ;   in Loop: Header=BB17_22 Depth=2
	s_or_b64 exec, exec, s[46:47]
	s_orn2_b64 s[50:51], s[50:51], exec
	s_orn2_b64 s[46:47], s[48:49], exec
.LBB17_17:                              ;   in Loop: Header=BB17_22 Depth=2
	s_or_b64 exec, exec, s[44:45]
	s_and_b64 s[48:49], s[50:51], exec
	s_orn2_b64 s[44:45], s[46:47], exec
.LBB17_18:                              ;   in Loop: Header=BB17_22 Depth=2
	s_or_b64 exec, exec, s[42:43]
	s_orn2_b64 s[42:43], s[48:49], exec
	s_orn2_b64 s[44:45], s[44:45], exec
.LBB17_19:                              ;   in Loop: Header=BB17_22 Depth=2
	s_or_b64 exec, exec, s[40:41]
	s_and_b64 s[42:43], s[42:43], exec
	s_orn2_b64 s[40:41], s[44:45], exec
.LBB17_20:                              ;   in Loop: Header=BB17_22 Depth=2
	s_or_b64 exec, exec, s[38:39]
	s_andn2_b64 s[30:31], s[30:31], exec
	s_and_b64 s[38:39], s[42:43], exec
	s_or_b64 s[30:31], s[30:31], s[38:39]
	s_andn2_b64 s[28:29], s[28:29], exec
	s_and_b64 s[38:39], s[40:41], exec
	s_or_b64 s[28:29], s[28:29], s[38:39]
.LBB17_21:                              ;   in Loop: Header=BB17_22 Depth=2
	s_or_b64 exec, exec, s[36:37]
	s_and_b64 s[36:37], exec, s[28:29]
	s_or_b64 s[26:27], s[36:37], s[26:27]
	s_andn2_b64 s[18:19], s[18:19], exec
	s_and_b64 s[36:37], s[30:31], exec
	s_or_b64 s[18:19], s[18:19], s[36:37]
	s_andn2_b64 exec, exec, s[26:27]
	s_cbranch_execz .LBB17_31
.LBB17_22:                              ;   Parent Loop BB17_13 Depth=1
                                        ; =>  This Inner Loop Header: Depth=2
	v_and_b32_e32 v16, 0xff, v17
	v_lshl_add_u32 v21, v16, 2, v20
	ds_read_b32 v22, v21
	s_or_b64 s[30:31], s[30:31], exec
	s_or_b64 s[28:29], s[28:29], exec
	s_waitcnt lgkmcnt(0)
	v_cmp_ne_u32_e32 vcc, v22, v11
	s_and_saveexec_b64 s[36:37], vcc
	s_cbranch_execz .LBB17_21
; %bb.23:                               ;   in Loop: Header=BB17_22 Depth=2
	ds_cmpst_rtn_b32 v21, v21, v14, v11
	s_mov_b64 s[40:41], -1
	s_mov_b64 s[42:43], 0
	s_waitcnt lgkmcnt(0)
	v_cmp_ne_u32_e32 vcc, -1, v21
	s_and_saveexec_b64 s[38:39], vcc
	s_cbranch_execz .LBB17_20
; %bb.24:                               ;   in Loop: Header=BB17_22 Depth=2
	v_add_u32_e32 v16, 1, v17
	v_and_b32_e32 v16, 0xff, v16
	v_lshl_add_u32 v21, v16, 2, v20
	ds_read_b32 v22, v21
	s_mov_b64 s[44:45], -1
	s_mov_b64 s[42:43], -1
	s_waitcnt lgkmcnt(0)
	v_cmp_ne_u32_e32 vcc, v22, v11
	s_and_saveexec_b64 s[40:41], vcc
	s_cbranch_execz .LBB17_19
; %bb.25:                               ;   in Loop: Header=BB17_22 Depth=2
	ds_cmpst_rtn_b32 v21, v21, v14, v11
	s_mov_b64 s[48:49], 0
	s_waitcnt lgkmcnt(0)
	v_cmp_ne_u32_e32 vcc, -1, v21
	s_and_saveexec_b64 s[42:43], vcc
	s_cbranch_execz .LBB17_18
; %bb.26:                               ;   in Loop: Header=BB17_22 Depth=2
	v_add_u32_e32 v16, 2, v17
	v_and_b32_e32 v16, 0xff, v16
	v_lshl_add_u32 v21, v16, 2, v20
	ds_read_b32 v22, v21
	s_mov_b64 s[46:47], -1
	s_mov_b64 s[50:51], -1
	s_waitcnt lgkmcnt(0)
	v_cmp_ne_u32_e32 vcc, v22, v11
	s_and_saveexec_b64 s[44:45], vcc
	s_cbranch_execz .LBB17_17
; %bb.27:                               ;   in Loop: Header=BB17_22 Depth=2
	ds_cmpst_rtn_b32 v21, v21, v14, v11
	s_mov_b64 s[48:49], -1
	s_mov_b64 s[50:51], 0
	s_waitcnt lgkmcnt(0)
	v_cmp_ne_u32_e32 vcc, -1, v21
	s_and_saveexec_b64 s[46:47], vcc
	s_cbranch_execz .LBB17_16
; %bb.28:                               ;   in Loop: Header=BB17_22 Depth=2
	v_add_u32_e32 v16, 3, v17
	v_and_b32_e32 v16, 0xff, v16
	v_lshl_add_u32 v21, v16, 2, v20
	ds_read_b32 v17, v21
	s_mov_b64 s[52:53], -1
	s_mov_b64 s[50:51], -1
	s_waitcnt lgkmcnt(0)
	v_cmp_ne_u32_e32 vcc, v17, v11
                                        ; implicit-def: $vgpr17
	s_and_saveexec_b64 s[48:49], vcc
	s_cbranch_execz .LBB17_15
; %bb.29:                               ;   in Loop: Header=BB17_22 Depth=2
	ds_cmpst_rtn_b32 v17, v21, v14, v11
	s_mov_b64 s[50:51], 0
	s_waitcnt lgkmcnt(0)
	v_cmp_ne_u32_e32 vcc, -1, v17
                                        ; implicit-def: $vgpr17
	s_and_saveexec_b64 s[54:55], vcc
	s_cbranch_execz .LBB17_14
; %bb.30:                               ;   in Loop: Header=BB17_22 Depth=2
	v_add_u32_e32 v15, -4, v15
	v_cmp_eq_u32_e32 vcc, 0, v15
	s_mov_b64 s[50:51], exec
	v_add_u32_e32 v17, 1, v16
	s_orn2_b64 s[52:53], vcc, exec
	s_branch .LBB17_14
.LBB17_31:                              ;   in Loop: Header=BB17_13 Depth=1
	s_or_b64 exec, exec, s[26:27]
	s_xor_b64 s[18:19], s[18:19], -1
	s_and_saveexec_b64 s[26:27], s[18:19]
	s_xor_b64 s[18:19], exec, s[26:27]
	s_cbranch_execz .LBB17_12
; %bb.32:                               ;   in Loop: Header=BB17_13 Depth=1
	v_lshl_add_u32 v11, v16, 2, v0
	ds_write_b32 v11, v10
	s_branch .LBB17_12
.LBB17_33:
	s_or_b64 exec, exec, s[0:1]
	s_waitcnt vmcnt(0)
	v_cmp_lt_i32_e32 vcc, v9, v8
	s_waitcnt lgkmcnt(0)
	s_and_saveexec_b64 s[0:1], vcc
	s_cbranch_execz .LBB17_63
; %bb.34:
	v_add_u32_e32 v21, 1, v18
	s_mov_b64 s[6:7], 0
	v_mov_b32_e32 v22, s11
	v_mov_b32_e32 v23, s13
	;; [unrolled: 1-line block ×5, first 2 shown]
	s_movk_i32 s9, 0x67
	s_branch .LBB17_37
.LBB17_35:                              ;   in Loop: Header=BB17_37 Depth=1
	s_or_b64 exec, exec, s[26:27]
	v_add_u32_e32 v9, 1, v9
	v_cmp_ge_i32_e32 vcc, v9, v8
	s_orn2_b64 s[26:27], vcc, exec
.LBB17_36:                              ;   in Loop: Header=BB17_37 Depth=1
	s_or_b64 exec, exec, s[18:19]
	s_and_b64 s[18:19], exec, s[26:27]
	s_or_b64 s[6:7], s[18:19], s[6:7]
	s_andn2_b64 exec, exec, s[6:7]
	s_cbranch_execz .LBB17_63
.LBB17_37:                              ; =>This Loop Header: Depth=1
                                        ;     Child Loop BB17_38 Depth 2
                                        ;     Child Loop BB17_43 Depth 2
                                        ;       Child Loop BB17_52 Depth 3
	v_ashrrev_i32_e32 v10, 31, v9
	v_lshlrev_b64 v[11:12], 2, v[9:10]
	s_mov_b64 s[18:19], 0
	v_add_co_u32_e32 v11, vcc, s10, v11
	v_addc_co_u32_e32 v12, vcc, v22, v12, vcc
	global_load_dword v12, v[11:12], off
	v_lshlrev_b64 v[10:11], 3, v[9:10]
	v_add_co_u32_e32 v13, vcc, s12, v10
	v_addc_co_u32_e32 v14, vcc, v23, v11, vcc
	global_load_dwordx2 v[10:11], v[13:14], off
	s_waitcnt vmcnt(1)
	v_subrev_u32_e32 v15, s34, v12
	v_ashrrev_i32_e32 v16, 31, v15
	v_lshlrev_b64 v[15:16], 2, v[15:16]
	v_add_co_u32_e32 v27, vcc, s8, v15
	v_addc_co_u32_e32 v28, vcc, v24, v16, vcc
	v_add_co_u32_e32 v29, vcc, s14, v15
	v_addc_co_u32_e32 v30, vcc, v25, v16, vcc
	global_load_dword v12, v[27:28], off offset:4
	global_load_dword v17, v[29:30], off
	v_add_co_u32_e32 v15, vcc, s16, v15
	v_addc_co_u32_e32 v16, vcc, v26, v16, vcc
.LBB17_38:                              ;   Parent Loop BB17_37 Depth=1
                                        ; =>  This Inner Loop Header: Depth=2
	global_load_dword v27, v[15:16], off glc
	s_waitcnt vmcnt(0)
	v_cmp_ne_u32_e32 vcc, 0, v27
	s_or_b64 s[18:19], vcc, s[18:19]
	s_andn2_b64 exec, exec, s[18:19]
	s_cbranch_execnz .LBB17_38
; %bb.39:                               ;   in Loop: Header=BB17_37 Depth=1
	s_or_b64 exec, exec, s[18:19]
	v_subrev_u32_e32 v27, s34, v12
	v_add_u32_e32 v12, -1, v27
	v_cmp_eq_u32_e32 vcc, -1, v17
	v_cndmask_b32_e32 v15, v17, v12, vcc
	v_ashrrev_i32_e32 v16, 31, v15
	v_lshlrev_b64 v[16:17], 3, v[15:16]
	buffer_wbinvl1_vol
	v_add_co_u32_e32 v16, vcc, s12, v16
	v_addc_co_u32_e32 v17, vcc, v23, v17, vcc
	global_load_dwordx2 v[16:17], v[16:17], off
	s_mov_b64 s[26:27], -1
	s_waitcnt vmcnt(0)
	v_cmp_neq_f64_e32 vcc, 0, v[16:17]
	s_and_saveexec_b64 s[18:19], vcc
	s_cbranch_execz .LBB17_36
; %bb.40:                               ;   in Loop: Header=BB17_37 Depth=1
	v_div_scale_f64 v[28:29], s[26:27], v[16:17], v[16:17], v[10:11]
	v_add_u32_e32 v12, v21, v15
	v_rcp_f64_e32 v[30:31], v[28:29]
	v_fma_f64 v[32:33], -v[28:29], v[30:31], 1.0
	v_fma_f64 v[30:31], v[30:31], v[32:33], v[30:31]
	v_div_scale_f64 v[32:33], vcc, v[10:11], v[16:17], v[10:11]
	v_fma_f64 v[34:35], -v[28:29], v[30:31], 1.0
	v_fma_f64 v[30:31], v[30:31], v[34:35], v[30:31]
	v_mul_f64 v[34:35], v[32:33], v[30:31]
	v_fma_f64 v[28:29], -v[28:29], v[34:35], v[32:33]
	v_div_fmas_f64 v[28:29], v[28:29], v[30:31], v[34:35]
	v_cmp_lt_i32_e32 vcc, v12, v27
	v_div_fixup_f64 v[10:11], v[28:29], v[16:17], v[10:11]
	global_store_dwordx2 v[13:14], v[10:11], off
	s_and_saveexec_b64 s[26:27], vcc
	s_cbranch_execz .LBB17_35
; %bb.41:                               ;   in Loop: Header=BB17_37 Depth=1
	s_mov_b64 s[28:29], 0
	s_branch .LBB17_43
.LBB17_42:                              ;   in Loop: Header=BB17_43 Depth=2
	s_or_b64 exec, exec, s[30:31]
	v_add_u32_e32 v12, 32, v12
	v_cmp_ge_i32_e32 vcc, v12, v27
	s_or_b64 s[28:29], vcc, s[28:29]
	s_andn2_b64 exec, exec, s[28:29]
	s_cbranch_execz .LBB17_35
.LBB17_43:                              ;   Parent Loop BB17_37 Depth=1
                                        ; =>  This Loop Header: Depth=2
                                        ;       Child Loop BB17_52 Depth 3
	v_ashrrev_i32_e32 v13, 31, v12
	v_lshlrev_b64 v[14:15], 2, v[12:13]
	s_mov_b64 s[36:37], 0
	v_add_co_u32_e32 v14, vcc, s10, v14
	v_addc_co_u32_e32 v15, vcc, v22, v15, vcc
	global_load_dword v14, v[14:15], off
	v_mov_b32_e32 v15, 0x100
                                        ; implicit-def: $sgpr30_sgpr31
                                        ; implicit-def: $sgpr38_sgpr39
                                        ; implicit-def: $sgpr40_sgpr41
	s_waitcnt vmcnt(0)
	v_mul_lo_u32 v17, v14, s9
	s_branch .LBB17_52
.LBB17_44:                              ;   in Loop: Header=BB17_52 Depth=3
	s_or_b64 exec, exec, s[60:61]
	s_orn2_b64 s[56:57], s[56:57], exec
	s_orn2_b64 s[58:59], s[58:59], exec
.LBB17_45:                              ;   in Loop: Header=BB17_52 Depth=3
	s_or_b64 exec, exec, s[54:55]
	s_and_b64 s[56:57], s[56:57], exec
	s_orn2_b64 s[54:55], s[58:59], exec
.LBB17_46:                              ;   in Loop: Header=BB17_52 Depth=3
	s_or_b64 exec, exec, s[52:53]
	s_orn2_b64 s[56:57], s[56:57], exec
	s_orn2_b64 s[52:53], s[54:55], exec
.LBB17_47:                              ;   in Loop: Header=BB17_52 Depth=3
	s_or_b64 exec, exec, s[50:51]
	s_and_b64 s[54:55], s[56:57], exec
	s_orn2_b64 s[50:51], s[52:53], exec
.LBB17_48:                              ;   in Loop: Header=BB17_52 Depth=3
	s_or_b64 exec, exec, s[48:49]
	s_orn2_b64 s[48:49], s[54:55], exec
	s_orn2_b64 s[50:51], s[50:51], exec
.LBB17_49:                              ;   in Loop: Header=BB17_52 Depth=3
	s_or_b64 exec, exec, s[46:47]
	s_and_b64 s[48:49], s[48:49], exec
	s_orn2_b64 s[46:47], s[50:51], exec
.LBB17_50:                              ;   in Loop: Header=BB17_52 Depth=3
	s_or_b64 exec, exec, s[44:45]
	s_andn2_b64 s[40:41], s[40:41], exec
	s_and_b64 s[44:45], s[48:49], exec
	s_or_b64 s[40:41], s[40:41], s[44:45]
	s_andn2_b64 s[38:39], s[38:39], exec
	s_and_b64 s[44:45], s[46:47], exec
	s_or_b64 s[38:39], s[38:39], s[44:45]
.LBB17_51:                              ;   in Loop: Header=BB17_52 Depth=3
	s_or_b64 exec, exec, s[42:43]
	s_and_b64 s[42:43], exec, s[38:39]
	s_or_b64 s[36:37], s[42:43], s[36:37]
	s_andn2_b64 s[30:31], s[30:31], exec
	s_and_b64 s[42:43], s[40:41], exec
	s_or_b64 s[30:31], s[30:31], s[42:43]
	s_andn2_b64 exec, exec, s[36:37]
	s_cbranch_execz .LBB17_61
.LBB17_52:                              ;   Parent Loop BB17_37 Depth=1
                                        ;     Parent Loop BB17_43 Depth=2
                                        ; =>    This Inner Loop Header: Depth=3
	v_and_b32_e32 v16, 0xff, v17
	v_lshl_add_u32 v28, v16, 2, v20
	ds_read_b32 v28, v28
	s_or_b64 s[40:41], s[40:41], exec
	s_or_b64 s[38:39], s[38:39], exec
	s_waitcnt lgkmcnt(0)
	v_cmp_ne_u32_e32 vcc, -1, v28
	s_and_saveexec_b64 s[42:43], vcc
	s_cbranch_execz .LBB17_51
; %bb.53:                               ;   in Loop: Header=BB17_52 Depth=3
	v_cmp_ne_u32_e32 vcc, v28, v14
	s_mov_b64 s[46:47], -1
	s_mov_b64 s[48:49], 0
	s_and_saveexec_b64 s[44:45], vcc
	s_cbranch_execz .LBB17_50
; %bb.54:                               ;   in Loop: Header=BB17_52 Depth=3
	v_add_u32_e32 v16, 1, v17
	v_and_b32_e32 v16, 0xff, v16
	v_lshl_add_u32 v28, v16, 2, v20
	ds_read_b32 v28, v28
	s_mov_b64 s[50:51], -1
	s_mov_b64 s[48:49], -1
	s_waitcnt lgkmcnt(0)
	v_cmp_ne_u32_e32 vcc, -1, v28
	s_and_saveexec_b64 s[46:47], vcc
	s_cbranch_execz .LBB17_49
; %bb.55:                               ;   in Loop: Header=BB17_52 Depth=3
	v_cmp_ne_u32_e32 vcc, v28, v14
	s_mov_b64 s[54:55], 0
	s_and_saveexec_b64 s[48:49], vcc
	s_cbranch_execz .LBB17_48
; %bb.56:                               ;   in Loop: Header=BB17_52 Depth=3
	v_add_u32_e32 v16, 2, v17
	v_and_b32_e32 v16, 0xff, v16
	v_lshl_add_u32 v28, v16, 2, v20
	ds_read_b32 v28, v28
	s_mov_b64 s[52:53], -1
	s_mov_b64 s[56:57], -1
	s_waitcnt lgkmcnt(0)
	v_cmp_ne_u32_e32 vcc, -1, v28
	s_and_saveexec_b64 s[50:51], vcc
	s_cbranch_execz .LBB17_47
; %bb.57:                               ;   in Loop: Header=BB17_52 Depth=3
	v_cmp_ne_u32_e32 vcc, v28, v14
	s_mov_b64 s[54:55], -1
	s_mov_b64 s[56:57], 0
	s_and_saveexec_b64 s[52:53], vcc
	s_cbranch_execz .LBB17_46
; %bb.58:                               ;   in Loop: Header=BB17_52 Depth=3
	v_add_u32_e32 v16, 3, v17
	v_and_b32_e32 v16, 0xff, v16
	v_lshl_add_u32 v17, v16, 2, v20
	ds_read_b32 v28, v17
	s_mov_b64 s[58:59], -1
	s_mov_b64 s[56:57], -1
                                        ; implicit-def: $vgpr17
	s_waitcnt lgkmcnt(0)
	v_cmp_ne_u32_e32 vcc, -1, v28
	s_and_saveexec_b64 s[54:55], vcc
	s_cbranch_execz .LBB17_45
; %bb.59:                               ;   in Loop: Header=BB17_52 Depth=3
	v_cmp_ne_u32_e32 vcc, v28, v14
	s_mov_b64 s[56:57], 0
                                        ; implicit-def: $vgpr17
	s_and_saveexec_b64 s[60:61], vcc
	s_cbranch_execz .LBB17_44
; %bb.60:                               ;   in Loop: Header=BB17_52 Depth=3
	v_add_u32_e32 v15, -4, v15
	v_cmp_eq_u32_e32 vcc, 0, v15
	s_mov_b64 s[56:57], exec
	v_add_u32_e32 v17, 1, v16
	s_orn2_b64 s[58:59], vcc, exec
	s_branch .LBB17_44
.LBB17_61:                              ;   in Loop: Header=BB17_43 Depth=2
	s_or_b64 exec, exec, s[36:37]
	s_xor_b64 s[30:31], s[30:31], -1
	s_and_saveexec_b64 s[36:37], s[30:31]
	s_xor_b64 s[30:31], exec, s[36:37]
	s_cbranch_execz .LBB17_42
; %bb.62:                               ;   in Loop: Header=BB17_43 Depth=2
	v_lshl_add_u32 v14, v16, 2, v0
	ds_read_b32 v14, v14
	v_lshlrev_b64 v[16:17], 3, v[12:13]
	v_add_co_u32_e32 v16, vcc, s12, v16
	s_waitcnt lgkmcnt(0)
	v_ashrrev_i32_e32 v15, 31, v14
	v_lshlrev_b64 v[13:14], 3, v[14:15]
	v_addc_co_u32_e32 v17, vcc, v23, v17, vcc
	v_add_co_u32_e32 v13, vcc, s12, v13
	v_addc_co_u32_e32 v14, vcc, v23, v14, vcc
	global_load_dwordx2 v[28:29], v[16:17], off
	global_load_dwordx2 v[30:31], v[13:14], off
	s_waitcnt vmcnt(0)
	v_fma_f64 v[15:16], -v[10:11], v[28:29], v[30:31]
	global_store_dwordx2 v[13:14], v[15:16], off
	s_branch .LBB17_42
.LBB17_63:
	s_or_b64 exec, exec, s[0:1]
	v_cmp_lt_i32_e32 vcc, -1, v8
	s_and_saveexec_b64 s[6:7], vcc
	s_cbranch_execz .LBB17_79
; %bb.64:
	v_mov_b32_e32 v9, 0
	v_lshlrev_b64 v[8:9], 3, v[8:9]
	v_mov_b32_e32 v0, s13
	v_add_co_u32_e32 v10, vcc, s12, v8
	v_addc_co_u32_e32 v11, vcc, v0, v9, vcc
	global_load_dwordx2 v[8:9], v[10:11], off
	s_andn2_b64 vcc, exec, s[2:3]
	v_cmp_eq_u32_e64 s[0:1], 0, v18
	s_waitcnt vmcnt(0)
	v_cmp_gt_f64_e64 s[2:3], 0, v[8:9]
	v_xor_b32_e32 v0, 0x80000000, v9
	v_mov_b32_e32 v12, v8
	v_cndmask_b32_e64 v13, v9, v0, s[2:3]
	s_mov_b64 s[2:3], -1
	s_cbranch_vccnz .LBB17_68
; %bb.65:
	v_cvt_f64_f32_e32 v[14:15], v19
	s_cmp_eq_u64 s[24:25], 8
	s_cselect_b64 vcc, -1, 0
	v_cndmask_b32_e32 v4, v15, v4, vcc
	v_cndmask_b32_e32 v3, v14, v3, vcc
	v_cmp_le_f64_e32 vcc, v[12:13], v[3:4]
	s_and_b64 s[8:9], s[0:1], vcc
	s_and_saveexec_b64 s[2:3], s[8:9]
	s_cbranch_execz .LBB17_67
; %bb.66:
	global_store_dwordx2 v[10:11], v[5:6], off
	s_waitcnt vmcnt(0)
	buffer_wbinvl1_vol
.LBB17_67:
	s_or_b64 exec, exec, s[2:3]
	s_mov_b64 s[2:3], 0
.LBB17_68:
	s_andn2_b64 vcc, exec, s[2:3]
	s_cbranch_vccnz .LBB17_79
; %bb.69:
	s_load_dwordx2 s[2:3], s[4:5], 0x48
	v_add_u32_e32 v0, s34, v7
	s_waitcnt lgkmcnt(0)
	v_cmp_ge_f64_e32 vcc, s[2:3], v[12:13]
	s_and_b64 s[4:5], s[0:1], vcc
	s_and_saveexec_b64 s[2:3], s[4:5]
	s_cbranch_execz .LBB17_74
; %bb.70:
	s_mov_b64 s[4:5], exec
	s_brev_b32 s8, -2
.LBB17_71:                              ; =>This Inner Loop Header: Depth=1
	s_ff1_i32_b64 s9, s[4:5]
	v_readlane_b32 s12, v0, s9
	s_lshl_b64 s[10:11], 1, s9
	s_min_i32 s8, s8, s12
	s_andn2_b64 s[4:5], s[4:5], s[10:11]
	s_cmp_lg_u64 s[4:5], 0
	s_cbranch_scc1 .LBB17_71
; %bb.72:
	v_mbcnt_lo_u32_b32 v3, exec_lo, 0
	v_mbcnt_hi_u32_b32 v3, exec_hi, v3
	v_cmp_eq_u32_e32 vcc, 0, v3
	s_and_saveexec_b64 s[4:5], vcc
	s_xor_b64 s[4:5], exec, s[4:5]
	s_cbranch_execz .LBB17_74
; %bb.73:
	v_mov_b32_e32 v3, 0
	v_mov_b32_e32 v4, s8
	global_atomic_smin v3, v4, s[22:23]
.LBB17_74:
	s_or_b64 exec, exec, s[2:3]
	v_cmp_eq_f64_e32 vcc, 0, v[8:9]
	s_and_b64 s[0:1], s[0:1], vcc
	s_and_b64 exec, exec, s[0:1]
	s_cbranch_execz .LBB17_79
; %bb.75:
	s_mov_b64 s[0:1], exec
	s_brev_b32 s2, -2
.LBB17_76:                              ; =>This Inner Loop Header: Depth=1
	s_ff1_i32_b64 s3, s[0:1]
	v_readlane_b32 s8, v0, s3
	s_lshl_b64 s[4:5], 1, s3
	s_min_i32 s2, s2, s8
	s_andn2_b64 s[0:1], s[0:1], s[4:5]
	s_cmp_lg_u64 s[0:1], 0
	s_cbranch_scc1 .LBB17_76
; %bb.77:
	v_mbcnt_lo_u32_b32 v0, exec_lo, 0
	v_mbcnt_hi_u32_b32 v0, exec_hi, v0
	v_cmp_eq_u32_e32 vcc, 0, v0
	s_and_saveexec_b64 s[0:1], vcc
	s_xor_b64 s[0:1], exec, s[0:1]
	s_cbranch_execz .LBB17_79
; %bb.78:
	v_mov_b32_e32 v0, 0
	v_mov_b32_e32 v3, s2
	global_atomic_smin v0, v3, s[20:21]
.LBB17_79:
	s_or_b64 exec, exec, s[6:7]
	v_cmp_eq_u32_e32 vcc, 0, v18
	s_waitcnt vmcnt(0)
	buffer_wbinvl1_vol
	s_and_b64 exec, exec, vcc
	s_cbranch_execz .LBB17_81
; %bb.80:
	v_mov_b32_e32 v3, s17
	v_add_co_u32_e32 v0, vcc, s16, v1
	v_addc_co_u32_e32 v1, vcc, v3, v2, vcc
	v_mov_b32_e32 v2, 1
	global_store_dword v[0:1], v2, off
.LBB17_81:
	s_endpgm
	.section	.rodata,"a",@progbits
	.p2align	6, 0x0
	.amdhsa_kernel _ZN9rocsparseL12csrilu0_hashILj256ELj32ELj8EdEEviPKiS2_PT2_S2_PiS2_S5_S5_d21rocsparse_index_base_imNS_24const_host_device_scalarIfEENS7_IdEENS7_IS3_EEb
		.amdhsa_group_segment_fixed_size 16384
		.amdhsa_private_segment_fixed_size 0
		.amdhsa_kernarg_size 124
		.amdhsa_user_sgpr_count 6
		.amdhsa_user_sgpr_private_segment_buffer 1
		.amdhsa_user_sgpr_dispatch_ptr 0
		.amdhsa_user_sgpr_queue_ptr 0
		.amdhsa_user_sgpr_kernarg_segment_ptr 1
		.amdhsa_user_sgpr_dispatch_id 0
		.amdhsa_user_sgpr_flat_scratch_init 0
		.amdhsa_user_sgpr_private_segment_size 0
		.amdhsa_uses_dynamic_stack 0
		.amdhsa_system_sgpr_private_segment_wavefront_offset 0
		.amdhsa_system_sgpr_workgroup_id_x 1
		.amdhsa_system_sgpr_workgroup_id_y 0
		.amdhsa_system_sgpr_workgroup_id_z 0
		.amdhsa_system_sgpr_workgroup_info 0
		.amdhsa_system_vgpr_workitem_id 0
		.amdhsa_next_free_vgpr 49
		.amdhsa_next_free_sgpr 98
		.amdhsa_reserve_vcc 1
		.amdhsa_reserve_flat_scratch 0
		.amdhsa_float_round_mode_32 0
		.amdhsa_float_round_mode_16_64 0
		.amdhsa_float_denorm_mode_32 3
		.amdhsa_float_denorm_mode_16_64 3
		.amdhsa_dx10_clamp 1
		.amdhsa_ieee_mode 1
		.amdhsa_fp16_overflow 0
		.amdhsa_exception_fp_ieee_invalid_op 0
		.amdhsa_exception_fp_denorm_src 0
		.amdhsa_exception_fp_ieee_div_zero 0
		.amdhsa_exception_fp_ieee_overflow 0
		.amdhsa_exception_fp_ieee_underflow 0
		.amdhsa_exception_fp_ieee_inexact 0
		.amdhsa_exception_int_div_zero 0
	.end_amdhsa_kernel
	.section	.text._ZN9rocsparseL12csrilu0_hashILj256ELj32ELj8EdEEviPKiS2_PT2_S2_PiS2_S5_S5_d21rocsparse_index_base_imNS_24const_host_device_scalarIfEENS7_IdEENS7_IS3_EEb,"axG",@progbits,_ZN9rocsparseL12csrilu0_hashILj256ELj32ELj8EdEEviPKiS2_PT2_S2_PiS2_S5_S5_d21rocsparse_index_base_imNS_24const_host_device_scalarIfEENS7_IdEENS7_IS3_EEb,comdat
.Lfunc_end17:
	.size	_ZN9rocsparseL12csrilu0_hashILj256ELj32ELj8EdEEviPKiS2_PT2_S2_PiS2_S5_S5_d21rocsparse_index_base_imNS_24const_host_device_scalarIfEENS7_IdEENS7_IS3_EEb, .Lfunc_end17-_ZN9rocsparseL12csrilu0_hashILj256ELj32ELj8EdEEviPKiS2_PT2_S2_PiS2_S5_S5_d21rocsparse_index_base_imNS_24const_host_device_scalarIfEENS7_IdEENS7_IS3_EEb
                                        ; -- End function
	.set _ZN9rocsparseL12csrilu0_hashILj256ELj32ELj8EdEEviPKiS2_PT2_S2_PiS2_S5_S5_d21rocsparse_index_base_imNS_24const_host_device_scalarIfEENS7_IdEENS7_IS3_EEb.num_vgpr, 36
	.set _ZN9rocsparseL12csrilu0_hashILj256ELj32ELj8EdEEviPKiS2_PT2_S2_PiS2_S5_S5_d21rocsparse_index_base_imNS_24const_host_device_scalarIfEENS7_IdEENS7_IS3_EEb.num_agpr, 0
	.set _ZN9rocsparseL12csrilu0_hashILj256ELj32ELj8EdEEviPKiS2_PT2_S2_PiS2_S5_S5_d21rocsparse_index_base_imNS_24const_host_device_scalarIfEENS7_IdEENS7_IS3_EEb.numbered_sgpr, 62
	.set _ZN9rocsparseL12csrilu0_hashILj256ELj32ELj8EdEEviPKiS2_PT2_S2_PiS2_S5_S5_d21rocsparse_index_base_imNS_24const_host_device_scalarIfEENS7_IdEENS7_IS3_EEb.num_named_barrier, 0
	.set _ZN9rocsparseL12csrilu0_hashILj256ELj32ELj8EdEEviPKiS2_PT2_S2_PiS2_S5_S5_d21rocsparse_index_base_imNS_24const_host_device_scalarIfEENS7_IdEENS7_IS3_EEb.private_seg_size, 0
	.set _ZN9rocsparseL12csrilu0_hashILj256ELj32ELj8EdEEviPKiS2_PT2_S2_PiS2_S5_S5_d21rocsparse_index_base_imNS_24const_host_device_scalarIfEENS7_IdEENS7_IS3_EEb.uses_vcc, 1
	.set _ZN9rocsparseL12csrilu0_hashILj256ELj32ELj8EdEEviPKiS2_PT2_S2_PiS2_S5_S5_d21rocsparse_index_base_imNS_24const_host_device_scalarIfEENS7_IdEENS7_IS3_EEb.uses_flat_scratch, 0
	.set _ZN9rocsparseL12csrilu0_hashILj256ELj32ELj8EdEEviPKiS2_PT2_S2_PiS2_S5_S5_d21rocsparse_index_base_imNS_24const_host_device_scalarIfEENS7_IdEENS7_IS3_EEb.has_dyn_sized_stack, 0
	.set _ZN9rocsparseL12csrilu0_hashILj256ELj32ELj8EdEEviPKiS2_PT2_S2_PiS2_S5_S5_d21rocsparse_index_base_imNS_24const_host_device_scalarIfEENS7_IdEENS7_IS3_EEb.has_recursion, 0
	.set _ZN9rocsparseL12csrilu0_hashILj256ELj32ELj8EdEEviPKiS2_PT2_S2_PiS2_S5_S5_d21rocsparse_index_base_imNS_24const_host_device_scalarIfEENS7_IdEENS7_IS3_EEb.has_indirect_call, 0
	.section	.AMDGPU.csdata,"",@progbits
; Kernel info:
; codeLenInByte = 2600
; TotalNumSgprs: 66
; NumVgprs: 36
; ScratchSize: 0
; MemoryBound: 0
; FloatMode: 240
; IeeeMode: 1
; LDSByteSize: 16384 bytes/workgroup (compile time only)
; SGPRBlocks: 12
; VGPRBlocks: 12
; NumSGPRsForWavesPerEU: 102
; NumVGPRsForWavesPerEU: 49
; Occupancy: 4
; WaveLimiterHint : 1
; COMPUTE_PGM_RSRC2:SCRATCH_EN: 0
; COMPUTE_PGM_RSRC2:USER_SGPR: 6
; COMPUTE_PGM_RSRC2:TRAP_HANDLER: 0
; COMPUTE_PGM_RSRC2:TGID_X_EN: 1
; COMPUTE_PGM_RSRC2:TGID_Y_EN: 0
; COMPUTE_PGM_RSRC2:TGID_Z_EN: 0
; COMPUTE_PGM_RSRC2:TIDIG_COMP_CNT: 0
	.section	.text._ZN9rocsparseL12csrilu0_hashILj256ELj32ELj16EdEEviPKiS2_PT2_S2_PiS2_S5_S5_d21rocsparse_index_base_imNS_24const_host_device_scalarIfEENS7_IdEENS7_IS3_EEb,"axG",@progbits,_ZN9rocsparseL12csrilu0_hashILj256ELj32ELj16EdEEviPKiS2_PT2_S2_PiS2_S5_S5_d21rocsparse_index_base_imNS_24const_host_device_scalarIfEENS7_IdEENS7_IS3_EEb,comdat
	.globl	_ZN9rocsparseL12csrilu0_hashILj256ELj32ELj16EdEEviPKiS2_PT2_S2_PiS2_S5_S5_d21rocsparse_index_base_imNS_24const_host_device_scalarIfEENS7_IdEENS7_IS3_EEb ; -- Begin function _ZN9rocsparseL12csrilu0_hashILj256ELj32ELj16EdEEviPKiS2_PT2_S2_PiS2_S5_S5_d21rocsparse_index_base_imNS_24const_host_device_scalarIfEENS7_IdEENS7_IS3_EEb
	.p2align	8
	.type	_ZN9rocsparseL12csrilu0_hashILj256ELj32ELj16EdEEviPKiS2_PT2_S2_PiS2_S5_S5_d21rocsparse_index_base_imNS_24const_host_device_scalarIfEENS7_IdEENS7_IS3_EEb,@function
_ZN9rocsparseL12csrilu0_hashILj256ELj32ELj16EdEEviPKiS2_PT2_S2_PiS2_S5_S5_d21rocsparse_index_base_imNS_24const_host_device_scalarIfEENS7_IdEENS7_IS3_EEb: ; @_ZN9rocsparseL12csrilu0_hashILj256ELj32ELj16EdEEviPKiS2_PT2_S2_PiS2_S5_S5_d21rocsparse_index_base_imNS_24const_host_device_scalarIfEENS7_IdEENS7_IS3_EEb
; %bb.0:
	s_load_dword s0, s[4:5], 0x78
	s_load_dwordx2 s[34:35], s[4:5], 0x50
	s_load_dwordx8 s[24:31], s[4:5], 0x58
	s_waitcnt lgkmcnt(0)
	s_bitcmp1_b32 s0, 0
	s_cselect_b64 s[0:1], -1, 0
	s_cmp_eq_u32 s35, 0
	s_cselect_b64 s[8:9], -1, 0
	s_cmp_lg_u32 s35, 0
	s_cselect_b64 s[2:3], -1, 0
	s_or_b64 s[0:1], s[8:9], s[0:1]
	s_xor_b64 s[10:11], s[0:1], -1
	s_and_b64 s[12:13], s[8:9], exec
	s_cselect_b32 s13, 0, s29
	s_cselect_b32 s12, 0, s28
	s_and_b64 vcc, exec, s[0:1]
	s_cbranch_vccnz .LBB18_2
; %bb.1:
	s_load_dword s0, s[26:27], 0x0
	s_mov_b64 s[12:13], s[28:29]
	s_waitcnt lgkmcnt(0)
	v_mov_b32_e32 v19, s0
	s_branch .LBB18_3
.LBB18_2:
	v_mov_b32_e32 v1, s26
	v_cndmask_b32_e64 v19, v1, 0, s[8:9]
.LBB18_3:
	v_cndmask_b32_e64 v1, 0, 1, s[10:11]
	v_mov_b32_e32 v3, s12
	v_cmp_ne_u32_e64 s[0:1], 1, v1
	s_andn2_b64 vcc, exec, s[10:11]
	v_mov_b32_e32 v4, s13
	s_cbranch_vccnz .LBB18_5
; %bb.4:
	v_mov_b32_e32 v1, s28
	v_mov_b32_e32 v2, s29
	flat_load_dwordx2 v[3:4], v[1:2]
.LBB18_5:
	s_and_b64 s[8:9], s[8:9], exec
	s_cselect_b32 s8, 0, s30
	s_cselect_b32 s9, 0, s31
	v_mov_b32_e32 v5, s8
	s_and_b64 vcc, exec, s[0:1]
	v_mov_b32_e32 v6, s9
	s_cbranch_vccnz .LBB18_7
; %bb.6:
	v_mov_b32_e32 v1, s30
	v_mov_b32_e32 v2, s31
	flat_load_dwordx2 v[5:6], v[1:2]
.LBB18_7:
	v_and_b32_e32 v18, 31, v0
	v_lshrrev_b32_e32 v1, 5, v0
	v_lshlrev_b32_e32 v7, 11, v1
	v_lshlrev_b32_e32 v8, 2, v18
	s_movk_i32 s0, 0x4000
	v_or_b32_e32 v2, 0xffffffe0, v18
	v_or3_b32 v7, v7, v8, s0
	s_mov_b64 s[0:1], 0
	v_mov_b32_e32 v8, -1
	s_movk_i32 s7, 0x1df
.LBB18_8:                               ; =>This Inner Loop Header: Depth=1
	v_add_u32_e32 v2, 32, v2
	v_cmp_lt_u32_e32 vcc, s7, v2
	ds_write_b32 v7, v8
	s_or_b64 s[0:1], vcc, s[0:1]
	v_add_u32_e32 v7, 0x80, v7
	s_andn2_b64 exec, exec, s[0:1]
	s_cbranch_execnz .LBB18_8
; %bb.9:
	s_or_b64 exec, exec, s[0:1]
	s_load_dword s0, s[4:5], 0x0
	s_lshl_b32 s1, s6, 3
	s_and_b32 s1, s1, 0x7fffff8
	v_or_b32_e32 v1, s1, v1
	s_waitcnt lgkmcnt(0)
	v_cmp_gt_i32_e32 vcc, s0, v1
	s_and_saveexec_b64 s[0:1], vcc
	s_cbranch_execz .LBB18_81
; %bb.10:
	s_load_dwordx16 s[8:23], s[4:5], 0x8
	v_lshlrev_b32_e32 v1, 2, v1
	v_lshlrev_b32_e32 v0, 6, v0
	v_and_b32_e32 v0, 0x3800, v0
	v_or_b32_e32 v20, 0x4000, v0
	s_waitcnt lgkmcnt(0)
	global_load_dword v7, v1, s[18:19]
	v_mov_b32_e32 v9, s9
	v_mov_b32_e32 v12, s15
	s_waitcnt vmcnt(0)
	v_ashrrev_i32_e32 v8, 31, v7
	v_lshlrev_b64 v[1:2], 2, v[7:8]
	v_add_co_u32_e32 v8, vcc, s8, v1
	v_addc_co_u32_e32 v9, vcc, v9, v2, vcc
	global_load_dwordx2 v[9:10], v[8:9], off
	v_add_co_u32_e32 v11, vcc, s14, v1
	v_addc_co_u32_e32 v12, vcc, v12, v2, vcc
	global_load_dword v8, v[11:12], off
	s_waitcnt vmcnt(1)
	v_subrev_u32_e32 v9, s34, v9
	v_subrev_u32_e32 v12, s34, v10
	v_add_u32_e32 v10, v9, v18
	v_cmp_lt_i32_e32 vcc, v10, v12
	s_and_saveexec_b64 s[0:1], vcc
	s_cbranch_execz .LBB18_33
; %bb.11:
	s_mov_b64 s[6:7], 0
	v_mov_b32_e32 v13, s11
	s_movk_i32 s33, 0x67
	v_mov_b32_e32 v14, -1
	s_branch .LBB18_13
.LBB18_12:                              ;   in Loop: Header=BB18_13 Depth=1
	s_or_b64 exec, exec, s[18:19]
	v_add_u32_e32 v10, 32, v10
	v_cmp_ge_i32_e32 vcc, v10, v12
	s_or_b64 s[6:7], vcc, s[6:7]
	s_andn2_b64 exec, exec, s[6:7]
	s_cbranch_execz .LBB18_33
.LBB18_13:                              ; =>This Loop Header: Depth=1
                                        ;     Child Loop BB18_22 Depth 2
	v_ashrrev_i32_e32 v11, 31, v10
	v_lshlrev_b64 v[15:16], 2, v[10:11]
	s_mov_b64 s[26:27], 0
	v_add_co_u32_e32 v15, vcc, s10, v15
	v_addc_co_u32_e32 v16, vcc, v13, v16, vcc
	global_load_dword v11, v[15:16], off
	v_mov_b32_e32 v15, 0x200
                                        ; implicit-def: $sgpr18_sgpr19
                                        ; implicit-def: $sgpr28_sgpr29
                                        ; implicit-def: $sgpr30_sgpr31
	s_waitcnt vmcnt(0)
	v_mul_lo_u32 v17, v11, s33
	s_branch .LBB18_22
.LBB18_14:                              ;   in Loop: Header=BB18_22 Depth=2
	s_or_b64 exec, exec, s[54:55]
	s_orn2_b64 s[50:51], s[50:51], exec
	s_orn2_b64 s[52:53], s[52:53], exec
.LBB18_15:                              ;   in Loop: Header=BB18_22 Depth=2
	s_or_b64 exec, exec, s[48:49]
	s_and_b64 s[50:51], s[50:51], exec
	s_orn2_b64 s[48:49], s[52:53], exec
.LBB18_16:                              ;   in Loop: Header=BB18_22 Depth=2
	s_or_b64 exec, exec, s[46:47]
	s_orn2_b64 s[50:51], s[50:51], exec
	s_orn2_b64 s[46:47], s[48:49], exec
.LBB18_17:                              ;   in Loop: Header=BB18_22 Depth=2
	s_or_b64 exec, exec, s[44:45]
	s_and_b64 s[48:49], s[50:51], exec
	s_orn2_b64 s[44:45], s[46:47], exec
.LBB18_18:                              ;   in Loop: Header=BB18_22 Depth=2
	s_or_b64 exec, exec, s[42:43]
	s_orn2_b64 s[42:43], s[48:49], exec
	s_orn2_b64 s[44:45], s[44:45], exec
.LBB18_19:                              ;   in Loop: Header=BB18_22 Depth=2
	s_or_b64 exec, exec, s[40:41]
	s_and_b64 s[42:43], s[42:43], exec
	s_orn2_b64 s[40:41], s[44:45], exec
.LBB18_20:                              ;   in Loop: Header=BB18_22 Depth=2
	s_or_b64 exec, exec, s[38:39]
	s_andn2_b64 s[30:31], s[30:31], exec
	s_and_b64 s[38:39], s[42:43], exec
	s_or_b64 s[30:31], s[30:31], s[38:39]
	s_andn2_b64 s[28:29], s[28:29], exec
	s_and_b64 s[38:39], s[40:41], exec
	s_or_b64 s[28:29], s[28:29], s[38:39]
.LBB18_21:                              ;   in Loop: Header=BB18_22 Depth=2
	s_or_b64 exec, exec, s[36:37]
	s_and_b64 s[36:37], exec, s[28:29]
	s_or_b64 s[26:27], s[36:37], s[26:27]
	s_andn2_b64 s[18:19], s[18:19], exec
	s_and_b64 s[36:37], s[30:31], exec
	s_or_b64 s[18:19], s[18:19], s[36:37]
	s_andn2_b64 exec, exec, s[26:27]
	s_cbranch_execz .LBB18_31
.LBB18_22:                              ;   Parent Loop BB18_13 Depth=1
                                        ; =>  This Inner Loop Header: Depth=2
	v_and_b32_e32 v16, 0x1ff, v17
	v_lshl_add_u32 v21, v16, 2, v20
	ds_read_b32 v22, v21
	s_or_b64 s[30:31], s[30:31], exec
	s_or_b64 s[28:29], s[28:29], exec
	s_waitcnt lgkmcnt(0)
	v_cmp_ne_u32_e32 vcc, v22, v11
	s_and_saveexec_b64 s[36:37], vcc
	s_cbranch_execz .LBB18_21
; %bb.23:                               ;   in Loop: Header=BB18_22 Depth=2
	ds_cmpst_rtn_b32 v21, v21, v14, v11
	s_mov_b64 s[40:41], -1
	s_mov_b64 s[42:43], 0
	s_waitcnt lgkmcnt(0)
	v_cmp_ne_u32_e32 vcc, -1, v21
	s_and_saveexec_b64 s[38:39], vcc
	s_cbranch_execz .LBB18_20
; %bb.24:                               ;   in Loop: Header=BB18_22 Depth=2
	v_add_u32_e32 v16, 1, v17
	v_and_b32_e32 v16, 0x1ff, v16
	v_lshl_add_u32 v21, v16, 2, v20
	ds_read_b32 v22, v21
	s_mov_b64 s[44:45], -1
	s_mov_b64 s[42:43], -1
	s_waitcnt lgkmcnt(0)
	v_cmp_ne_u32_e32 vcc, v22, v11
	s_and_saveexec_b64 s[40:41], vcc
	s_cbranch_execz .LBB18_19
; %bb.25:                               ;   in Loop: Header=BB18_22 Depth=2
	ds_cmpst_rtn_b32 v21, v21, v14, v11
	s_mov_b64 s[48:49], 0
	s_waitcnt lgkmcnt(0)
	v_cmp_ne_u32_e32 vcc, -1, v21
	s_and_saveexec_b64 s[42:43], vcc
	s_cbranch_execz .LBB18_18
; %bb.26:                               ;   in Loop: Header=BB18_22 Depth=2
	v_add_u32_e32 v16, 2, v17
	v_and_b32_e32 v16, 0x1ff, v16
	v_lshl_add_u32 v21, v16, 2, v20
	ds_read_b32 v22, v21
	s_mov_b64 s[46:47], -1
	s_mov_b64 s[50:51], -1
	s_waitcnt lgkmcnt(0)
	v_cmp_ne_u32_e32 vcc, v22, v11
	s_and_saveexec_b64 s[44:45], vcc
	s_cbranch_execz .LBB18_17
; %bb.27:                               ;   in Loop: Header=BB18_22 Depth=2
	ds_cmpst_rtn_b32 v21, v21, v14, v11
	s_mov_b64 s[48:49], -1
	s_mov_b64 s[50:51], 0
	s_waitcnt lgkmcnt(0)
	v_cmp_ne_u32_e32 vcc, -1, v21
	s_and_saveexec_b64 s[46:47], vcc
	s_cbranch_execz .LBB18_16
; %bb.28:                               ;   in Loop: Header=BB18_22 Depth=2
	v_add_u32_e32 v16, 3, v17
	v_and_b32_e32 v16, 0x1ff, v16
	v_lshl_add_u32 v21, v16, 2, v20
	ds_read_b32 v17, v21
	s_mov_b64 s[52:53], -1
	s_mov_b64 s[50:51], -1
	s_waitcnt lgkmcnt(0)
	v_cmp_ne_u32_e32 vcc, v17, v11
                                        ; implicit-def: $vgpr17
	s_and_saveexec_b64 s[48:49], vcc
	s_cbranch_execz .LBB18_15
; %bb.29:                               ;   in Loop: Header=BB18_22 Depth=2
	ds_cmpst_rtn_b32 v17, v21, v14, v11
	s_mov_b64 s[50:51], 0
	s_waitcnt lgkmcnt(0)
	v_cmp_ne_u32_e32 vcc, -1, v17
                                        ; implicit-def: $vgpr17
	s_and_saveexec_b64 s[54:55], vcc
	s_cbranch_execz .LBB18_14
; %bb.30:                               ;   in Loop: Header=BB18_22 Depth=2
	v_add_u32_e32 v15, -4, v15
	v_cmp_eq_u32_e32 vcc, 0, v15
	s_mov_b64 s[50:51], exec
	v_add_u32_e32 v17, 1, v16
	s_orn2_b64 s[52:53], vcc, exec
	s_branch .LBB18_14
.LBB18_31:                              ;   in Loop: Header=BB18_13 Depth=1
	s_or_b64 exec, exec, s[26:27]
	s_xor_b64 s[18:19], s[18:19], -1
	s_and_saveexec_b64 s[26:27], s[18:19]
	s_xor_b64 s[18:19], exec, s[26:27]
	s_cbranch_execz .LBB18_12
; %bb.32:                               ;   in Loop: Header=BB18_13 Depth=1
	v_lshl_add_u32 v11, v16, 2, v0
	ds_write_b32 v11, v10
	s_branch .LBB18_12
.LBB18_33:
	s_or_b64 exec, exec, s[0:1]
	s_waitcnt vmcnt(0)
	v_cmp_lt_i32_e32 vcc, v9, v8
	s_waitcnt lgkmcnt(0)
	s_and_saveexec_b64 s[0:1], vcc
	s_cbranch_execz .LBB18_63
; %bb.34:
	v_add_u32_e32 v21, 1, v18
	s_mov_b64 s[6:7], 0
	v_mov_b32_e32 v22, s11
	v_mov_b32_e32 v23, s13
	;; [unrolled: 1-line block ×5, first 2 shown]
	s_movk_i32 s9, 0x67
	s_branch .LBB18_37
.LBB18_35:                              ;   in Loop: Header=BB18_37 Depth=1
	s_or_b64 exec, exec, s[26:27]
	v_add_u32_e32 v9, 1, v9
	v_cmp_ge_i32_e32 vcc, v9, v8
	s_orn2_b64 s[26:27], vcc, exec
.LBB18_36:                              ;   in Loop: Header=BB18_37 Depth=1
	s_or_b64 exec, exec, s[18:19]
	s_and_b64 s[18:19], exec, s[26:27]
	s_or_b64 s[6:7], s[18:19], s[6:7]
	s_andn2_b64 exec, exec, s[6:7]
	s_cbranch_execz .LBB18_63
.LBB18_37:                              ; =>This Loop Header: Depth=1
                                        ;     Child Loop BB18_38 Depth 2
                                        ;     Child Loop BB18_43 Depth 2
                                        ;       Child Loop BB18_52 Depth 3
	v_ashrrev_i32_e32 v10, 31, v9
	v_lshlrev_b64 v[11:12], 2, v[9:10]
	s_mov_b64 s[18:19], 0
	v_add_co_u32_e32 v11, vcc, s10, v11
	v_addc_co_u32_e32 v12, vcc, v22, v12, vcc
	global_load_dword v12, v[11:12], off
	v_lshlrev_b64 v[10:11], 3, v[9:10]
	v_add_co_u32_e32 v13, vcc, s12, v10
	v_addc_co_u32_e32 v14, vcc, v23, v11, vcc
	global_load_dwordx2 v[10:11], v[13:14], off
	s_waitcnt vmcnt(1)
	v_subrev_u32_e32 v15, s34, v12
	v_ashrrev_i32_e32 v16, 31, v15
	v_lshlrev_b64 v[15:16], 2, v[15:16]
	v_add_co_u32_e32 v27, vcc, s8, v15
	v_addc_co_u32_e32 v28, vcc, v24, v16, vcc
	v_add_co_u32_e32 v29, vcc, s14, v15
	v_addc_co_u32_e32 v30, vcc, v25, v16, vcc
	global_load_dword v12, v[27:28], off offset:4
	global_load_dword v17, v[29:30], off
	v_add_co_u32_e32 v15, vcc, s16, v15
	v_addc_co_u32_e32 v16, vcc, v26, v16, vcc
.LBB18_38:                              ;   Parent Loop BB18_37 Depth=1
                                        ; =>  This Inner Loop Header: Depth=2
	global_load_dword v27, v[15:16], off glc
	s_waitcnt vmcnt(0)
	v_cmp_ne_u32_e32 vcc, 0, v27
	s_or_b64 s[18:19], vcc, s[18:19]
	s_andn2_b64 exec, exec, s[18:19]
	s_cbranch_execnz .LBB18_38
; %bb.39:                               ;   in Loop: Header=BB18_37 Depth=1
	s_or_b64 exec, exec, s[18:19]
	v_subrev_u32_e32 v27, s34, v12
	v_add_u32_e32 v12, -1, v27
	v_cmp_eq_u32_e32 vcc, -1, v17
	v_cndmask_b32_e32 v15, v17, v12, vcc
	v_ashrrev_i32_e32 v16, 31, v15
	v_lshlrev_b64 v[16:17], 3, v[15:16]
	buffer_wbinvl1_vol
	v_add_co_u32_e32 v16, vcc, s12, v16
	v_addc_co_u32_e32 v17, vcc, v23, v17, vcc
	global_load_dwordx2 v[16:17], v[16:17], off
	s_mov_b64 s[26:27], -1
	s_waitcnt vmcnt(0)
	v_cmp_neq_f64_e32 vcc, 0, v[16:17]
	s_and_saveexec_b64 s[18:19], vcc
	s_cbranch_execz .LBB18_36
; %bb.40:                               ;   in Loop: Header=BB18_37 Depth=1
	v_div_scale_f64 v[28:29], s[26:27], v[16:17], v[16:17], v[10:11]
	v_add_u32_e32 v12, v21, v15
	v_rcp_f64_e32 v[30:31], v[28:29]
	v_fma_f64 v[32:33], -v[28:29], v[30:31], 1.0
	v_fma_f64 v[30:31], v[30:31], v[32:33], v[30:31]
	v_div_scale_f64 v[32:33], vcc, v[10:11], v[16:17], v[10:11]
	v_fma_f64 v[34:35], -v[28:29], v[30:31], 1.0
	v_fma_f64 v[30:31], v[30:31], v[34:35], v[30:31]
	v_mul_f64 v[34:35], v[32:33], v[30:31]
	v_fma_f64 v[28:29], -v[28:29], v[34:35], v[32:33]
	v_div_fmas_f64 v[28:29], v[28:29], v[30:31], v[34:35]
	v_cmp_lt_i32_e32 vcc, v12, v27
	v_div_fixup_f64 v[10:11], v[28:29], v[16:17], v[10:11]
	global_store_dwordx2 v[13:14], v[10:11], off
	s_and_saveexec_b64 s[26:27], vcc
	s_cbranch_execz .LBB18_35
; %bb.41:                               ;   in Loop: Header=BB18_37 Depth=1
	s_mov_b64 s[28:29], 0
	s_branch .LBB18_43
.LBB18_42:                              ;   in Loop: Header=BB18_43 Depth=2
	s_or_b64 exec, exec, s[30:31]
	v_add_u32_e32 v12, 32, v12
	v_cmp_ge_i32_e32 vcc, v12, v27
	s_or_b64 s[28:29], vcc, s[28:29]
	s_andn2_b64 exec, exec, s[28:29]
	s_cbranch_execz .LBB18_35
.LBB18_43:                              ;   Parent Loop BB18_37 Depth=1
                                        ; =>  This Loop Header: Depth=2
                                        ;       Child Loop BB18_52 Depth 3
	v_ashrrev_i32_e32 v13, 31, v12
	v_lshlrev_b64 v[14:15], 2, v[12:13]
	s_mov_b64 s[36:37], 0
	v_add_co_u32_e32 v14, vcc, s10, v14
	v_addc_co_u32_e32 v15, vcc, v22, v15, vcc
	global_load_dword v14, v[14:15], off
	v_mov_b32_e32 v15, 0x200
                                        ; implicit-def: $sgpr30_sgpr31
                                        ; implicit-def: $sgpr38_sgpr39
                                        ; implicit-def: $sgpr40_sgpr41
	s_waitcnt vmcnt(0)
	v_mul_lo_u32 v17, v14, s9
	s_branch .LBB18_52
.LBB18_44:                              ;   in Loop: Header=BB18_52 Depth=3
	s_or_b64 exec, exec, s[60:61]
	s_orn2_b64 s[56:57], s[56:57], exec
	s_orn2_b64 s[58:59], s[58:59], exec
.LBB18_45:                              ;   in Loop: Header=BB18_52 Depth=3
	s_or_b64 exec, exec, s[54:55]
	s_and_b64 s[56:57], s[56:57], exec
	s_orn2_b64 s[54:55], s[58:59], exec
.LBB18_46:                              ;   in Loop: Header=BB18_52 Depth=3
	s_or_b64 exec, exec, s[52:53]
	s_orn2_b64 s[56:57], s[56:57], exec
	s_orn2_b64 s[52:53], s[54:55], exec
.LBB18_47:                              ;   in Loop: Header=BB18_52 Depth=3
	s_or_b64 exec, exec, s[50:51]
	s_and_b64 s[54:55], s[56:57], exec
	s_orn2_b64 s[50:51], s[52:53], exec
.LBB18_48:                              ;   in Loop: Header=BB18_52 Depth=3
	s_or_b64 exec, exec, s[48:49]
	s_orn2_b64 s[48:49], s[54:55], exec
	s_orn2_b64 s[50:51], s[50:51], exec
.LBB18_49:                              ;   in Loop: Header=BB18_52 Depth=3
	s_or_b64 exec, exec, s[46:47]
	s_and_b64 s[48:49], s[48:49], exec
	s_orn2_b64 s[46:47], s[50:51], exec
.LBB18_50:                              ;   in Loop: Header=BB18_52 Depth=3
	s_or_b64 exec, exec, s[44:45]
	s_andn2_b64 s[40:41], s[40:41], exec
	s_and_b64 s[44:45], s[48:49], exec
	s_or_b64 s[40:41], s[40:41], s[44:45]
	s_andn2_b64 s[38:39], s[38:39], exec
	s_and_b64 s[44:45], s[46:47], exec
	s_or_b64 s[38:39], s[38:39], s[44:45]
.LBB18_51:                              ;   in Loop: Header=BB18_52 Depth=3
	s_or_b64 exec, exec, s[42:43]
	s_and_b64 s[42:43], exec, s[38:39]
	s_or_b64 s[36:37], s[42:43], s[36:37]
	s_andn2_b64 s[30:31], s[30:31], exec
	s_and_b64 s[42:43], s[40:41], exec
	s_or_b64 s[30:31], s[30:31], s[42:43]
	s_andn2_b64 exec, exec, s[36:37]
	s_cbranch_execz .LBB18_61
.LBB18_52:                              ;   Parent Loop BB18_37 Depth=1
                                        ;     Parent Loop BB18_43 Depth=2
                                        ; =>    This Inner Loop Header: Depth=3
	v_and_b32_e32 v16, 0x1ff, v17
	v_lshl_add_u32 v28, v16, 2, v20
	ds_read_b32 v28, v28
	s_or_b64 s[40:41], s[40:41], exec
	s_or_b64 s[38:39], s[38:39], exec
	s_waitcnt lgkmcnt(0)
	v_cmp_ne_u32_e32 vcc, -1, v28
	s_and_saveexec_b64 s[42:43], vcc
	s_cbranch_execz .LBB18_51
; %bb.53:                               ;   in Loop: Header=BB18_52 Depth=3
	v_cmp_ne_u32_e32 vcc, v28, v14
	s_mov_b64 s[46:47], -1
	s_mov_b64 s[48:49], 0
	s_and_saveexec_b64 s[44:45], vcc
	s_cbranch_execz .LBB18_50
; %bb.54:                               ;   in Loop: Header=BB18_52 Depth=3
	v_add_u32_e32 v16, 1, v17
	v_and_b32_e32 v16, 0x1ff, v16
	v_lshl_add_u32 v28, v16, 2, v20
	ds_read_b32 v28, v28
	s_mov_b64 s[50:51], -1
	s_mov_b64 s[48:49], -1
	s_waitcnt lgkmcnt(0)
	v_cmp_ne_u32_e32 vcc, -1, v28
	s_and_saveexec_b64 s[46:47], vcc
	s_cbranch_execz .LBB18_49
; %bb.55:                               ;   in Loop: Header=BB18_52 Depth=3
	v_cmp_ne_u32_e32 vcc, v28, v14
	s_mov_b64 s[54:55], 0
	s_and_saveexec_b64 s[48:49], vcc
	s_cbranch_execz .LBB18_48
; %bb.56:                               ;   in Loop: Header=BB18_52 Depth=3
	v_add_u32_e32 v16, 2, v17
	v_and_b32_e32 v16, 0x1ff, v16
	v_lshl_add_u32 v28, v16, 2, v20
	ds_read_b32 v28, v28
	s_mov_b64 s[52:53], -1
	s_mov_b64 s[56:57], -1
	s_waitcnt lgkmcnt(0)
	v_cmp_ne_u32_e32 vcc, -1, v28
	s_and_saveexec_b64 s[50:51], vcc
	s_cbranch_execz .LBB18_47
; %bb.57:                               ;   in Loop: Header=BB18_52 Depth=3
	v_cmp_ne_u32_e32 vcc, v28, v14
	s_mov_b64 s[54:55], -1
	s_mov_b64 s[56:57], 0
	s_and_saveexec_b64 s[52:53], vcc
	s_cbranch_execz .LBB18_46
; %bb.58:                               ;   in Loop: Header=BB18_52 Depth=3
	v_add_u32_e32 v16, 3, v17
	v_and_b32_e32 v16, 0x1ff, v16
	v_lshl_add_u32 v17, v16, 2, v20
	ds_read_b32 v28, v17
	s_mov_b64 s[58:59], -1
	s_mov_b64 s[56:57], -1
                                        ; implicit-def: $vgpr17
	s_waitcnt lgkmcnt(0)
	v_cmp_ne_u32_e32 vcc, -1, v28
	s_and_saveexec_b64 s[54:55], vcc
	s_cbranch_execz .LBB18_45
; %bb.59:                               ;   in Loop: Header=BB18_52 Depth=3
	v_cmp_ne_u32_e32 vcc, v28, v14
	s_mov_b64 s[56:57], 0
                                        ; implicit-def: $vgpr17
	s_and_saveexec_b64 s[60:61], vcc
	s_cbranch_execz .LBB18_44
; %bb.60:                               ;   in Loop: Header=BB18_52 Depth=3
	v_add_u32_e32 v15, -4, v15
	v_cmp_eq_u32_e32 vcc, 0, v15
	s_mov_b64 s[56:57], exec
	v_add_u32_e32 v17, 1, v16
	s_orn2_b64 s[58:59], vcc, exec
	s_branch .LBB18_44
.LBB18_61:                              ;   in Loop: Header=BB18_43 Depth=2
	s_or_b64 exec, exec, s[36:37]
	s_xor_b64 s[30:31], s[30:31], -1
	s_and_saveexec_b64 s[36:37], s[30:31]
	s_xor_b64 s[30:31], exec, s[36:37]
	s_cbranch_execz .LBB18_42
; %bb.62:                               ;   in Loop: Header=BB18_43 Depth=2
	v_lshl_add_u32 v14, v16, 2, v0
	ds_read_b32 v14, v14
	v_lshlrev_b64 v[16:17], 3, v[12:13]
	v_add_co_u32_e32 v16, vcc, s12, v16
	s_waitcnt lgkmcnt(0)
	v_ashrrev_i32_e32 v15, 31, v14
	v_lshlrev_b64 v[13:14], 3, v[14:15]
	v_addc_co_u32_e32 v17, vcc, v23, v17, vcc
	v_add_co_u32_e32 v13, vcc, s12, v13
	v_addc_co_u32_e32 v14, vcc, v23, v14, vcc
	global_load_dwordx2 v[28:29], v[16:17], off
	global_load_dwordx2 v[30:31], v[13:14], off
	s_waitcnt vmcnt(0)
	v_fma_f64 v[15:16], -v[10:11], v[28:29], v[30:31]
	global_store_dwordx2 v[13:14], v[15:16], off
	s_branch .LBB18_42
.LBB18_63:
	s_or_b64 exec, exec, s[0:1]
	v_cmp_lt_i32_e32 vcc, -1, v8
	s_and_saveexec_b64 s[6:7], vcc
	s_cbranch_execz .LBB18_79
; %bb.64:
	v_mov_b32_e32 v9, 0
	v_lshlrev_b64 v[8:9], 3, v[8:9]
	v_mov_b32_e32 v0, s13
	v_add_co_u32_e32 v10, vcc, s12, v8
	v_addc_co_u32_e32 v11, vcc, v0, v9, vcc
	global_load_dwordx2 v[8:9], v[10:11], off
	s_andn2_b64 vcc, exec, s[2:3]
	v_cmp_eq_u32_e64 s[0:1], 0, v18
	s_waitcnt vmcnt(0)
	v_cmp_gt_f64_e64 s[2:3], 0, v[8:9]
	v_xor_b32_e32 v0, 0x80000000, v9
	v_mov_b32_e32 v12, v8
	v_cndmask_b32_e64 v13, v9, v0, s[2:3]
	s_mov_b64 s[2:3], -1
	s_cbranch_vccnz .LBB18_68
; %bb.65:
	v_cvt_f64_f32_e32 v[14:15], v19
	s_cmp_eq_u64 s[24:25], 8
	s_cselect_b64 vcc, -1, 0
	v_cndmask_b32_e32 v4, v15, v4, vcc
	v_cndmask_b32_e32 v3, v14, v3, vcc
	v_cmp_le_f64_e32 vcc, v[12:13], v[3:4]
	s_and_b64 s[8:9], s[0:1], vcc
	s_and_saveexec_b64 s[2:3], s[8:9]
	s_cbranch_execz .LBB18_67
; %bb.66:
	global_store_dwordx2 v[10:11], v[5:6], off
	s_waitcnt vmcnt(0)
	buffer_wbinvl1_vol
.LBB18_67:
	s_or_b64 exec, exec, s[2:3]
	s_mov_b64 s[2:3], 0
.LBB18_68:
	s_andn2_b64 vcc, exec, s[2:3]
	s_cbranch_vccnz .LBB18_79
; %bb.69:
	s_load_dwordx2 s[2:3], s[4:5], 0x48
	v_add_u32_e32 v0, s34, v7
	s_waitcnt lgkmcnt(0)
	v_cmp_ge_f64_e32 vcc, s[2:3], v[12:13]
	s_and_b64 s[4:5], s[0:1], vcc
	s_and_saveexec_b64 s[2:3], s[4:5]
	s_cbranch_execz .LBB18_74
; %bb.70:
	s_mov_b64 s[4:5], exec
	s_brev_b32 s8, -2
.LBB18_71:                              ; =>This Inner Loop Header: Depth=1
	s_ff1_i32_b64 s9, s[4:5]
	v_readlane_b32 s12, v0, s9
	s_lshl_b64 s[10:11], 1, s9
	s_min_i32 s8, s8, s12
	s_andn2_b64 s[4:5], s[4:5], s[10:11]
	s_cmp_lg_u64 s[4:5], 0
	s_cbranch_scc1 .LBB18_71
; %bb.72:
	v_mbcnt_lo_u32_b32 v3, exec_lo, 0
	v_mbcnt_hi_u32_b32 v3, exec_hi, v3
	v_cmp_eq_u32_e32 vcc, 0, v3
	s_and_saveexec_b64 s[4:5], vcc
	s_xor_b64 s[4:5], exec, s[4:5]
	s_cbranch_execz .LBB18_74
; %bb.73:
	v_mov_b32_e32 v3, 0
	v_mov_b32_e32 v4, s8
	global_atomic_smin v3, v4, s[22:23]
.LBB18_74:
	s_or_b64 exec, exec, s[2:3]
	v_cmp_eq_f64_e32 vcc, 0, v[8:9]
	s_and_b64 s[0:1], s[0:1], vcc
	s_and_b64 exec, exec, s[0:1]
	s_cbranch_execz .LBB18_79
; %bb.75:
	s_mov_b64 s[0:1], exec
	s_brev_b32 s2, -2
.LBB18_76:                              ; =>This Inner Loop Header: Depth=1
	s_ff1_i32_b64 s3, s[0:1]
	v_readlane_b32 s8, v0, s3
	s_lshl_b64 s[4:5], 1, s3
	s_min_i32 s2, s2, s8
	s_andn2_b64 s[0:1], s[0:1], s[4:5]
	s_cmp_lg_u64 s[0:1], 0
	s_cbranch_scc1 .LBB18_76
; %bb.77:
	v_mbcnt_lo_u32_b32 v0, exec_lo, 0
	v_mbcnt_hi_u32_b32 v0, exec_hi, v0
	v_cmp_eq_u32_e32 vcc, 0, v0
	s_and_saveexec_b64 s[0:1], vcc
	s_xor_b64 s[0:1], exec, s[0:1]
	s_cbranch_execz .LBB18_79
; %bb.78:
	v_mov_b32_e32 v0, 0
	v_mov_b32_e32 v3, s2
	global_atomic_smin v0, v3, s[20:21]
.LBB18_79:
	s_or_b64 exec, exec, s[6:7]
	v_cmp_eq_u32_e32 vcc, 0, v18
	s_waitcnt vmcnt(0)
	buffer_wbinvl1_vol
	s_and_b64 exec, exec, vcc
	s_cbranch_execz .LBB18_81
; %bb.80:
	v_mov_b32_e32 v3, s17
	v_add_co_u32_e32 v0, vcc, s16, v1
	v_addc_co_u32_e32 v1, vcc, v3, v2, vcc
	v_mov_b32_e32 v2, 1
	global_store_dword v[0:1], v2, off
.LBB18_81:
	s_endpgm
	.section	.rodata,"a",@progbits
	.p2align	6, 0x0
	.amdhsa_kernel _ZN9rocsparseL12csrilu0_hashILj256ELj32ELj16EdEEviPKiS2_PT2_S2_PiS2_S5_S5_d21rocsparse_index_base_imNS_24const_host_device_scalarIfEENS7_IdEENS7_IS3_EEb
		.amdhsa_group_segment_fixed_size 32768
		.amdhsa_private_segment_fixed_size 0
		.amdhsa_kernarg_size 124
		.amdhsa_user_sgpr_count 6
		.amdhsa_user_sgpr_private_segment_buffer 1
		.amdhsa_user_sgpr_dispatch_ptr 0
		.amdhsa_user_sgpr_queue_ptr 0
		.amdhsa_user_sgpr_kernarg_segment_ptr 1
		.amdhsa_user_sgpr_dispatch_id 0
		.amdhsa_user_sgpr_flat_scratch_init 0
		.amdhsa_user_sgpr_private_segment_size 0
		.amdhsa_uses_dynamic_stack 0
		.amdhsa_system_sgpr_private_segment_wavefront_offset 0
		.amdhsa_system_sgpr_workgroup_id_x 1
		.amdhsa_system_sgpr_workgroup_id_y 0
		.amdhsa_system_sgpr_workgroup_id_z 0
		.amdhsa_system_sgpr_workgroup_info 0
		.amdhsa_system_vgpr_workitem_id 0
		.amdhsa_next_free_vgpr 85
		.amdhsa_next_free_sgpr 98
		.amdhsa_reserve_vcc 1
		.amdhsa_reserve_flat_scratch 0
		.amdhsa_float_round_mode_32 0
		.amdhsa_float_round_mode_16_64 0
		.amdhsa_float_denorm_mode_32 3
		.amdhsa_float_denorm_mode_16_64 3
		.amdhsa_dx10_clamp 1
		.amdhsa_ieee_mode 1
		.amdhsa_fp16_overflow 0
		.amdhsa_exception_fp_ieee_invalid_op 0
		.amdhsa_exception_fp_denorm_src 0
		.amdhsa_exception_fp_ieee_div_zero 0
		.amdhsa_exception_fp_ieee_overflow 0
		.amdhsa_exception_fp_ieee_underflow 0
		.amdhsa_exception_fp_ieee_inexact 0
		.amdhsa_exception_int_div_zero 0
	.end_amdhsa_kernel
	.section	.text._ZN9rocsparseL12csrilu0_hashILj256ELj32ELj16EdEEviPKiS2_PT2_S2_PiS2_S5_S5_d21rocsparse_index_base_imNS_24const_host_device_scalarIfEENS7_IdEENS7_IS3_EEb,"axG",@progbits,_ZN9rocsparseL12csrilu0_hashILj256ELj32ELj16EdEEviPKiS2_PT2_S2_PiS2_S5_S5_d21rocsparse_index_base_imNS_24const_host_device_scalarIfEENS7_IdEENS7_IS3_EEb,comdat
.Lfunc_end18:
	.size	_ZN9rocsparseL12csrilu0_hashILj256ELj32ELj16EdEEviPKiS2_PT2_S2_PiS2_S5_S5_d21rocsparse_index_base_imNS_24const_host_device_scalarIfEENS7_IdEENS7_IS3_EEb, .Lfunc_end18-_ZN9rocsparseL12csrilu0_hashILj256ELj32ELj16EdEEviPKiS2_PT2_S2_PiS2_S5_S5_d21rocsparse_index_base_imNS_24const_host_device_scalarIfEENS7_IdEENS7_IS3_EEb
                                        ; -- End function
	.set _ZN9rocsparseL12csrilu0_hashILj256ELj32ELj16EdEEviPKiS2_PT2_S2_PiS2_S5_S5_d21rocsparse_index_base_imNS_24const_host_device_scalarIfEENS7_IdEENS7_IS3_EEb.num_vgpr, 36
	.set _ZN9rocsparseL12csrilu0_hashILj256ELj32ELj16EdEEviPKiS2_PT2_S2_PiS2_S5_S5_d21rocsparse_index_base_imNS_24const_host_device_scalarIfEENS7_IdEENS7_IS3_EEb.num_agpr, 0
	.set _ZN9rocsparseL12csrilu0_hashILj256ELj32ELj16EdEEviPKiS2_PT2_S2_PiS2_S5_S5_d21rocsparse_index_base_imNS_24const_host_device_scalarIfEENS7_IdEENS7_IS3_EEb.numbered_sgpr, 62
	.set _ZN9rocsparseL12csrilu0_hashILj256ELj32ELj16EdEEviPKiS2_PT2_S2_PiS2_S5_S5_d21rocsparse_index_base_imNS_24const_host_device_scalarIfEENS7_IdEENS7_IS3_EEb.num_named_barrier, 0
	.set _ZN9rocsparseL12csrilu0_hashILj256ELj32ELj16EdEEviPKiS2_PT2_S2_PiS2_S5_S5_d21rocsparse_index_base_imNS_24const_host_device_scalarIfEENS7_IdEENS7_IS3_EEb.private_seg_size, 0
	.set _ZN9rocsparseL12csrilu0_hashILj256ELj32ELj16EdEEviPKiS2_PT2_S2_PiS2_S5_S5_d21rocsparse_index_base_imNS_24const_host_device_scalarIfEENS7_IdEENS7_IS3_EEb.uses_vcc, 1
	.set _ZN9rocsparseL12csrilu0_hashILj256ELj32ELj16EdEEviPKiS2_PT2_S2_PiS2_S5_S5_d21rocsparse_index_base_imNS_24const_host_device_scalarIfEENS7_IdEENS7_IS3_EEb.uses_flat_scratch, 0
	.set _ZN9rocsparseL12csrilu0_hashILj256ELj32ELj16EdEEviPKiS2_PT2_S2_PiS2_S5_S5_d21rocsparse_index_base_imNS_24const_host_device_scalarIfEENS7_IdEENS7_IS3_EEb.has_dyn_sized_stack, 0
	.set _ZN9rocsparseL12csrilu0_hashILj256ELj32ELj16EdEEviPKiS2_PT2_S2_PiS2_S5_S5_d21rocsparse_index_base_imNS_24const_host_device_scalarIfEENS7_IdEENS7_IS3_EEb.has_recursion, 0
	.set _ZN9rocsparseL12csrilu0_hashILj256ELj32ELj16EdEEviPKiS2_PT2_S2_PiS2_S5_S5_d21rocsparse_index_base_imNS_24const_host_device_scalarIfEENS7_IdEENS7_IS3_EEb.has_indirect_call, 0
	.section	.AMDGPU.csdata,"",@progbits
; Kernel info:
; codeLenInByte = 2600
; TotalNumSgprs: 66
; NumVgprs: 36
; ScratchSize: 0
; MemoryBound: 0
; FloatMode: 240
; IeeeMode: 1
; LDSByteSize: 32768 bytes/workgroup (compile time only)
; SGPRBlocks: 12
; VGPRBlocks: 21
; NumSGPRsForWavesPerEU: 102
; NumVGPRsForWavesPerEU: 85
; Occupancy: 2
; WaveLimiterHint : 1
; COMPUTE_PGM_RSRC2:SCRATCH_EN: 0
; COMPUTE_PGM_RSRC2:USER_SGPR: 6
; COMPUTE_PGM_RSRC2:TRAP_HANDLER: 0
; COMPUTE_PGM_RSRC2:TGID_X_EN: 1
; COMPUTE_PGM_RSRC2:TGID_Y_EN: 0
; COMPUTE_PGM_RSRC2:TGID_Z_EN: 0
; COMPUTE_PGM_RSRC2:TIDIG_COMP_CNT: 0
	.section	.text._ZN9rocsparseL17csrilu0_binsearchILj256ELj32ELb0EdEEviPKiS2_PT2_S2_PiS2_S5_S5_d21rocsparse_index_base_imNS_24const_host_device_scalarIfEENS7_IdEENS7_IS3_EEb,"axG",@progbits,_ZN9rocsparseL17csrilu0_binsearchILj256ELj32ELb0EdEEviPKiS2_PT2_S2_PiS2_S5_S5_d21rocsparse_index_base_imNS_24const_host_device_scalarIfEENS7_IdEENS7_IS3_EEb,comdat
	.globl	_ZN9rocsparseL17csrilu0_binsearchILj256ELj32ELb0EdEEviPKiS2_PT2_S2_PiS2_S5_S5_d21rocsparse_index_base_imNS_24const_host_device_scalarIfEENS7_IdEENS7_IS3_EEb ; -- Begin function _ZN9rocsparseL17csrilu0_binsearchILj256ELj32ELb0EdEEviPKiS2_PT2_S2_PiS2_S5_S5_d21rocsparse_index_base_imNS_24const_host_device_scalarIfEENS7_IdEENS7_IS3_EEb
	.p2align	8
	.type	_ZN9rocsparseL17csrilu0_binsearchILj256ELj32ELb0EdEEviPKiS2_PT2_S2_PiS2_S5_S5_d21rocsparse_index_base_imNS_24const_host_device_scalarIfEENS7_IdEENS7_IS3_EEb,@function
_ZN9rocsparseL17csrilu0_binsearchILj256ELj32ELb0EdEEviPKiS2_PT2_S2_PiS2_S5_S5_d21rocsparse_index_base_imNS_24const_host_device_scalarIfEENS7_IdEENS7_IS3_EEb: ; @_ZN9rocsparseL17csrilu0_binsearchILj256ELj32ELb0EdEEviPKiS2_PT2_S2_PiS2_S5_S5_d21rocsparse_index_base_imNS_24const_host_device_scalarIfEENS7_IdEENS7_IS3_EEb
; %bb.0:
	s_load_dword s0, s[4:5], 0x78
	s_load_dwordx2 s[34:35], s[4:5], 0x50
	s_load_dwordx8 s[24:31], s[4:5], 0x58
	s_waitcnt lgkmcnt(0)
	s_bitcmp1_b32 s0, 0
	s_cselect_b64 s[0:1], -1, 0
	s_cmp_eq_u32 s35, 0
	s_cselect_b64 s[8:9], -1, 0
	s_cmp_lg_u32 s35, 0
	s_cselect_b64 s[2:3], -1, 0
	s_or_b64 s[0:1], s[8:9], s[0:1]
	s_xor_b64 s[10:11], s[0:1], -1
	s_and_b64 s[12:13], s[8:9], exec
	s_cselect_b32 s13, 0, s29
	s_cselect_b32 s12, 0, s28
	s_and_b64 vcc, exec, s[0:1]
	s_cbranch_vccnz .LBB19_2
; %bb.1:
	s_load_dword s0, s[26:27], 0x0
	s_mov_b64 s[12:13], s[28:29]
	s_waitcnt lgkmcnt(0)
	v_mov_b32_e32 v18, s0
	s_branch .LBB19_3
.LBB19_2:
	v_mov_b32_e32 v1, s26
	v_cndmask_b32_e64 v18, v1, 0, s[8:9]
.LBB19_3:
	v_cndmask_b32_e64 v1, 0, 1, s[10:11]
	v_mov_b32_e32 v3, s12
	v_cmp_ne_u32_e64 s[0:1], 1, v1
	s_andn2_b64 vcc, exec, s[10:11]
	v_mov_b32_e32 v4, s13
	s_cbranch_vccnz .LBB19_5
; %bb.4:
	v_mov_b32_e32 v1, s28
	v_mov_b32_e32 v2, s29
	flat_load_dwordx2 v[3:4], v[1:2]
.LBB19_5:
	s_and_b64 s[8:9], s[8:9], exec
	s_cselect_b32 s8, 0, s30
	s_cselect_b32 s9, 0, s31
	v_mov_b32_e32 v5, s8
	s_and_b64 vcc, exec, s[0:1]
	v_mov_b32_e32 v6, s9
	s_cbranch_vccnz .LBB19_7
; %bb.6:
	v_mov_b32_e32 v1, s30
	v_mov_b32_e32 v2, s31
	flat_load_dwordx2 v[5:6], v[1:2]
.LBB19_7:
	s_load_dword s0, s[4:5], 0x0
	s_lshl_b32 s1, s6, 3
	v_lshrrev_b32_e32 v1, 5, v0
	s_and_b32 s1, s1, 0x7fffff8
	v_or_b32_e32 v1, s1, v1
	s_waitcnt lgkmcnt(0)
	v_cmp_gt_i32_e32 vcc, s0, v1
	s_and_saveexec_b64 s[0:1], vcc
	s_cbranch_execz .LBB19_43
; %bb.8:
	s_load_dwordx16 s[8:23], s[4:5], 0x8
	v_lshlrev_b32_e32 v1, 2, v1
	v_and_b32_e32 v0, 31, v0
	s_waitcnt lgkmcnt(0)
	global_load_dword v7, v1, s[18:19]
	v_mov_b32_e32 v9, s15
	v_mov_b32_e32 v11, s9
	s_waitcnt vmcnt(0)
	v_ashrrev_i32_e32 v8, 31, v7
	v_lshlrev_b64 v[1:2], 2, v[7:8]
	v_add_co_u32_e32 v12, vcc, s14, v1
	v_addc_co_u32_e32 v13, vcc, v9, v2, vcc
	v_add_co_u32_e32 v10, vcc, s8, v1
	v_addc_co_u32_e32 v11, vcc, v11, v2, vcc
	global_load_dword v9, v[10:11], off
	global_load_dword v8, v[12:13], off
	s_waitcnt vmcnt(1)
	v_subrev_u32_e32 v9, s34, v9
	s_waitcnt vmcnt(0)
	v_cmp_lt_i32_e32 vcc, v9, v8
	s_and_saveexec_b64 s[0:1], vcc
	s_cbranch_execz .LBB19_25
; %bb.9:
	global_load_dword v10, v[10:11], off offset:4
	v_add_u32_e32 v19, 1, v0
	s_mov_b64 s[6:7], 0
	v_mov_b32_e32 v20, s11
	v_mov_b32_e32 v21, s13
	;; [unrolled: 1-line block ×5, first 2 shown]
	s_waitcnt vmcnt(0)
	v_xad_u32 v24, s34, -1, v10
	s_branch .LBB19_12
.LBB19_10:                              ;   in Loop: Header=BB19_12 Depth=1
	s_or_b64 exec, exec, s[26:27]
	v_cmp_ge_i32_e32 vcc, v9, v8
	s_orn2_b64 s[26:27], vcc, exec
.LBB19_11:                              ;   in Loop: Header=BB19_12 Depth=1
	s_or_b64 exec, exec, s[18:19]
	s_and_b64 s[18:19], exec, s[26:27]
	s_or_b64 s[6:7], s[18:19], s[6:7]
	s_andn2_b64 exec, exec, s[6:7]
	s_cbranch_execz .LBB19_25
.LBB19_12:                              ; =>This Loop Header: Depth=1
                                        ;     Child Loop BB19_14 Depth 2
                                        ;     Child Loop BB19_19 Depth 2
                                        ;       Child Loop BB19_21 Depth 3
	v_ashrrev_i32_e32 v10, 31, v9
	v_lshlrev_b64 v[11:12], 2, v[9:10]
	v_add_co_u32_e32 v11, vcc, s10, v11
	v_addc_co_u32_e32 v12, vcc, v20, v12, vcc
	global_load_dword v12, v[11:12], off
	v_lshlrev_b64 v[10:11], 3, v[9:10]
	v_add_co_u32_e32 v13, vcc, s12, v10
	v_addc_co_u32_e32 v14, vcc, v21, v11, vcc
	global_load_dwordx2 v[10:11], v[13:14], off
	s_waitcnt vmcnt(1)
	v_subrev_u32_e32 v15, s34, v12
	v_ashrrev_i32_e32 v16, 31, v15
	v_lshlrev_b64 v[15:16], 2, v[15:16]
	v_add_co_u32_e32 v26, vcc, s8, v15
	v_addc_co_u32_e32 v27, vcc, v22, v16, vcc
	v_add_co_u32_e32 v28, vcc, s14, v15
	v_addc_co_u32_e32 v29, vcc, v23, v16, vcc
	v_add_co_u32_e32 v15, vcc, s16, v15
	v_addc_co_u32_e32 v16, vcc, v25, v16, vcc
	global_load_dword v17, v[26:27], off offset:4
	global_load_dword v12, v[28:29], off
	global_load_dword v30, v[15:16], off glc
	s_waitcnt vmcnt(0)
	v_cmp_eq_u32_e32 vcc, 0, v30
	s_and_saveexec_b64 s[18:19], vcc
	s_cbranch_execz .LBB19_15
; %bb.13:                               ;   in Loop: Header=BB19_12 Depth=1
	s_mov_b64 s[26:27], 0
.LBB19_14:                              ;   Parent Loop BB19_12 Depth=1
                                        ; =>  This Inner Loop Header: Depth=2
	global_load_dword v26, v[15:16], off glc
	s_waitcnt vmcnt(0)
	v_cmp_ne_u32_e32 vcc, 0, v26
	s_or_b64 s[26:27], vcc, s[26:27]
	s_andn2_b64 exec, exec, s[26:27]
	s_cbranch_execnz .LBB19_14
.LBB19_15:                              ;   in Loop: Header=BB19_12 Depth=1
	s_or_b64 exec, exec, s[18:19]
	v_subrev_u32_e32 v26, s34, v17
	v_add_u32_e32 v15, -1, v26
	v_cmp_eq_u32_e32 vcc, -1, v12
	v_cndmask_b32_e32 v15, v12, v15, vcc
	v_ashrrev_i32_e32 v16, 31, v15
	v_lshlrev_b64 v[16:17], 3, v[15:16]
	v_mov_b32_e32 v12, s13
	v_add_co_u32_e32 v16, vcc, s12, v16
	v_addc_co_u32_e32 v17, vcc, v12, v17, vcc
	buffer_wbinvl1_vol
	global_load_dwordx2 v[16:17], v[16:17], off
	s_mov_b64 s[26:27], -1
	s_waitcnt vmcnt(0)
	v_cmp_neq_f64_e32 vcc, 0, v[16:17]
	s_and_saveexec_b64 s[18:19], vcc
	s_xor_b64 s[18:19], exec, s[18:19]
	s_cbranch_execz .LBB19_11
; %bb.16:                               ;   in Loop: Header=BB19_12 Depth=1
	v_div_scale_f64 v[27:28], s[26:27], v[16:17], v[16:17], v[10:11]
	v_add_u32_e32 v12, v19, v15
	v_add_u32_e32 v9, 1, v9
	v_rcp_f64_e32 v[29:30], v[27:28]
	v_fma_f64 v[31:32], -v[27:28], v[29:30], 1.0
	v_fma_f64 v[29:30], v[29:30], v[31:32], v[29:30]
	v_div_scale_f64 v[31:32], vcc, v[10:11], v[16:17], v[10:11]
	v_fma_f64 v[33:34], -v[27:28], v[29:30], 1.0
	v_fma_f64 v[29:30], v[29:30], v[33:34], v[29:30]
	v_mul_f64 v[33:34], v[31:32], v[29:30]
	v_fma_f64 v[27:28], -v[27:28], v[33:34], v[31:32]
	v_div_fmas_f64 v[27:28], v[27:28], v[29:30], v[33:34]
	v_cmp_lt_i32_e32 vcc, v12, v26
	v_div_fixup_f64 v[10:11], v[27:28], v[16:17], v[10:11]
	global_store_dwordx2 v[13:14], v[10:11], off
	s_and_saveexec_b64 s[26:27], vcc
	s_cbranch_execz .LBB19_10
; %bb.17:                               ;   in Loop: Header=BB19_12 Depth=1
	s_mov_b64 s[28:29], 0
	v_mov_b32_e32 v14, v9
	s_branch .LBB19_19
.LBB19_18:                              ;   in Loop: Header=BB19_19 Depth=2
	s_or_b64 exec, exec, s[30:31]
	v_add_u32_e32 v12, 32, v12
	v_cmp_ge_i32_e32 vcc, v12, v26
	s_or_b64 s[28:29], vcc, s[28:29]
	s_andn2_b64 exec, exec, s[28:29]
	s_cbranch_execz .LBB19_10
.LBB19_19:                              ;   Parent Loop BB19_12 Depth=1
                                        ; =>  This Loop Header: Depth=2
                                        ;       Child Loop BB19_21 Depth 3
	v_ashrrev_i32_e32 v13, 31, v12
	v_lshlrev_b64 v[15:16], 2, v[12:13]
	v_add_u32_e32 v17, v14, v24
	v_mov_b32_e32 v30, s11
	v_add_co_u32_e32 v27, vcc, s10, v15
	v_ashrrev_i32_e32 v15, 1, v17
	v_addc_co_u32_e32 v28, vcc, v30, v16, vcc
	v_ashrrev_i32_e32 v16, 31, v15
	v_lshlrev_b64 v[16:17], 2, v[15:16]
	v_add_co_u32_e32 v29, vcc, s10, v16
	v_addc_co_u32_e32 v30, vcc, v30, v17, vcc
	global_load_dword v17, v[27:28], off
	global_load_dword v16, v[29:30], off
	v_cmp_lt_i32_e32 vcc, v14, v24
	s_and_saveexec_b64 s[30:31], vcc
	s_cbranch_execz .LBB19_23
; %bb.20:                               ;   in Loop: Header=BB19_19 Depth=2
	s_mov_b64 s[36:37], 0
	v_mov_b32_e32 v27, v24
.LBB19_21:                              ;   Parent Loop BB19_12 Depth=1
                                        ;     Parent Loop BB19_19 Depth=2
                                        ; =>    This Inner Loop Header: Depth=3
	v_add_u32_e32 v28, 1, v15
	s_waitcnt vmcnt(0)
	v_cmp_lt_i32_e32 vcc, v16, v17
	v_cndmask_b32_e32 v27, v15, v27, vcc
	v_cndmask_b32_e32 v14, v14, v28, vcc
	v_add_u32_e32 v15, v27, v14
	v_ashrrev_i32_e32 v15, 1, v15
	v_ashrrev_i32_e32 v16, 31, v15
	v_lshlrev_b64 v[28:29], 2, v[15:16]
	v_mov_b32_e32 v16, s11
	v_add_co_u32_e32 v28, vcc, s10, v28
	v_addc_co_u32_e32 v29, vcc, v16, v29, vcc
	global_load_dword v16, v[28:29], off
	v_cmp_ge_i32_e32 vcc, v14, v27
	s_or_b64 s[36:37], vcc, s[36:37]
	s_andn2_b64 exec, exec, s[36:37]
	s_cbranch_execnz .LBB19_21
; %bb.22:                               ;   in Loop: Header=BB19_19 Depth=2
	s_or_b64 exec, exec, s[36:37]
.LBB19_23:                              ;   in Loop: Header=BB19_19 Depth=2
	s_or_b64 exec, exec, s[30:31]
	s_waitcnt vmcnt(0)
	v_cmp_eq_u32_e32 vcc, v16, v17
	s_and_saveexec_b64 s[30:31], vcc
	s_cbranch_execz .LBB19_18
; %bb.24:                               ;   in Loop: Header=BB19_19 Depth=2
	v_lshlrev_b64 v[15:16], 3, v[12:13]
	v_mov_b32_e32 v13, s13
	v_add_co_u32_e32 v27, vcc, s12, v15
	v_ashrrev_i32_e32 v15, 31, v14
	v_addc_co_u32_e32 v28, vcc, v13, v16, vcc
	v_lshlrev_b64 v[15:16], 3, v[14:15]
	v_add_co_u32_e32 v15, vcc, s12, v15
	v_addc_co_u32_e32 v16, vcc, v13, v16, vcc
	global_load_dwordx2 v[29:30], v[27:28], off
	global_load_dwordx2 v[31:32], v[15:16], off
	s_waitcnt vmcnt(0)
	v_fma_f64 v[27:28], -v[10:11], v[29:30], v[31:32]
	global_store_dwordx2 v[15:16], v[27:28], off
	s_branch .LBB19_18
.LBB19_25:
	s_or_b64 exec, exec, s[0:1]
	v_cmp_lt_i32_e32 vcc, -1, v8
	s_and_saveexec_b64 s[6:7], vcc
	s_cbranch_execz .LBB19_41
; %bb.26:
	v_mov_b32_e32 v9, 0
	v_lshlrev_b64 v[8:9], 3, v[8:9]
	v_mov_b32_e32 v11, s13
	v_add_co_u32_e32 v10, vcc, s12, v8
	v_addc_co_u32_e32 v11, vcc, v11, v9, vcc
	global_load_dwordx2 v[8:9], v[10:11], off
	s_andn2_b64 vcc, exec, s[2:3]
	v_cmp_eq_u32_e64 s[0:1], 0, v0
	s_waitcnt vmcnt(0)
	v_cmp_gt_f64_e64 s[2:3], 0, v[8:9]
	v_xor_b32_e32 v13, 0x80000000, v9
	v_mov_b32_e32 v12, v8
	v_cndmask_b32_e64 v13, v9, v13, s[2:3]
	s_mov_b64 s[2:3], -1
	s_cbranch_vccnz .LBB19_30
; %bb.27:
	v_cvt_f64_f32_e32 v[14:15], v18
	s_cmp_eq_u64 s[24:25], 8
	s_cselect_b64 vcc, -1, 0
	v_cndmask_b32_e32 v4, v15, v4, vcc
	v_cndmask_b32_e32 v3, v14, v3, vcc
	v_cmp_le_f64_e32 vcc, v[12:13], v[3:4]
	s_and_b64 s[8:9], s[0:1], vcc
	s_and_saveexec_b64 s[2:3], s[8:9]
	s_cbranch_execz .LBB19_29
; %bb.28:
	global_store_dwordx2 v[10:11], v[5:6], off
.LBB19_29:
	s_or_b64 exec, exec, s[2:3]
	s_mov_b64 s[2:3], 0
.LBB19_30:
	s_andn2_b64 vcc, exec, s[2:3]
	s_cbranch_vccnz .LBB19_41
; %bb.31:
	s_load_dwordx2 s[2:3], s[4:5], 0x48
	v_add_u32_e32 v3, s34, v7
	s_waitcnt lgkmcnt(0)
	v_cmp_ge_f64_e32 vcc, s[2:3], v[12:13]
	s_and_b64 s[4:5], s[0:1], vcc
	s_and_saveexec_b64 s[2:3], s[4:5]
	s_cbranch_execz .LBB19_36
; %bb.32:
	s_mov_b64 s[4:5], exec
	s_brev_b32 s8, -2
.LBB19_33:                              ; =>This Inner Loop Header: Depth=1
	s_ff1_i32_b64 s9, s[4:5]
	v_readlane_b32 s12, v3, s9
	s_lshl_b64 s[10:11], 1, s9
	s_min_i32 s8, s8, s12
	s_andn2_b64 s[4:5], s[4:5], s[10:11]
	s_cmp_lg_u64 s[4:5], 0
	s_cbranch_scc1 .LBB19_33
; %bb.34:
	v_mbcnt_lo_u32_b32 v4, exec_lo, 0
	v_mbcnt_hi_u32_b32 v4, exec_hi, v4
	v_cmp_eq_u32_e32 vcc, 0, v4
	s_and_saveexec_b64 s[4:5], vcc
	s_xor_b64 s[4:5], exec, s[4:5]
	s_cbranch_execz .LBB19_36
; %bb.35:
	v_mov_b32_e32 v4, 0
	v_mov_b32_e32 v5, s8
	global_atomic_smin v4, v5, s[22:23]
.LBB19_36:
	s_or_b64 exec, exec, s[2:3]
	v_cmp_eq_f64_e32 vcc, 0, v[8:9]
	s_and_b64 s[0:1], s[0:1], vcc
	s_and_b64 exec, exec, s[0:1]
	s_cbranch_execz .LBB19_41
; %bb.37:
	s_mov_b64 s[0:1], exec
	s_brev_b32 s2, -2
.LBB19_38:                              ; =>This Inner Loop Header: Depth=1
	s_ff1_i32_b64 s3, s[0:1]
	v_readlane_b32 s8, v3, s3
	s_lshl_b64 s[4:5], 1, s3
	s_min_i32 s2, s2, s8
	s_andn2_b64 s[0:1], s[0:1], s[4:5]
	s_cmp_lg_u64 s[0:1], 0
	s_cbranch_scc1 .LBB19_38
; %bb.39:
	v_mbcnt_lo_u32_b32 v3, exec_lo, 0
	v_mbcnt_hi_u32_b32 v3, exec_hi, v3
	v_cmp_eq_u32_e32 vcc, 0, v3
	s_and_saveexec_b64 s[0:1], vcc
	s_xor_b64 s[0:1], exec, s[0:1]
	s_cbranch_execz .LBB19_41
; %bb.40:
	v_mov_b32_e32 v3, 0
	v_mov_b32_e32 v4, s2
	global_atomic_smin v3, v4, s[20:21]
.LBB19_41:
	s_or_b64 exec, exec, s[6:7]
	v_cmp_eq_u32_e32 vcc, 0, v0
	s_waitcnt vmcnt(0)
	buffer_wbinvl1_vol
	s_and_b64 exec, exec, vcc
	s_cbranch_execz .LBB19_43
; %bb.42:
	v_mov_b32_e32 v3, s17
	v_add_co_u32_e32 v0, vcc, s16, v1
	v_addc_co_u32_e32 v1, vcc, v3, v2, vcc
	v_mov_b32_e32 v2, 1
	global_store_dword v[0:1], v2, off
.LBB19_43:
	s_endpgm
	.section	.rodata,"a",@progbits
	.p2align	6, 0x0
	.amdhsa_kernel _ZN9rocsparseL17csrilu0_binsearchILj256ELj32ELb0EdEEviPKiS2_PT2_S2_PiS2_S5_S5_d21rocsparse_index_base_imNS_24const_host_device_scalarIfEENS7_IdEENS7_IS3_EEb
		.amdhsa_group_segment_fixed_size 0
		.amdhsa_private_segment_fixed_size 0
		.amdhsa_kernarg_size 124
		.amdhsa_user_sgpr_count 6
		.amdhsa_user_sgpr_private_segment_buffer 1
		.amdhsa_user_sgpr_dispatch_ptr 0
		.amdhsa_user_sgpr_queue_ptr 0
		.amdhsa_user_sgpr_kernarg_segment_ptr 1
		.amdhsa_user_sgpr_dispatch_id 0
		.amdhsa_user_sgpr_flat_scratch_init 0
		.amdhsa_user_sgpr_private_segment_size 0
		.amdhsa_uses_dynamic_stack 0
		.amdhsa_system_sgpr_private_segment_wavefront_offset 0
		.amdhsa_system_sgpr_workgroup_id_x 1
		.amdhsa_system_sgpr_workgroup_id_y 0
		.amdhsa_system_sgpr_workgroup_id_z 0
		.amdhsa_system_sgpr_workgroup_info 0
		.amdhsa_system_vgpr_workitem_id 0
		.amdhsa_next_free_vgpr 35
		.amdhsa_next_free_sgpr 38
		.amdhsa_reserve_vcc 1
		.amdhsa_reserve_flat_scratch 0
		.amdhsa_float_round_mode_32 0
		.amdhsa_float_round_mode_16_64 0
		.amdhsa_float_denorm_mode_32 3
		.amdhsa_float_denorm_mode_16_64 3
		.amdhsa_dx10_clamp 1
		.amdhsa_ieee_mode 1
		.amdhsa_fp16_overflow 0
		.amdhsa_exception_fp_ieee_invalid_op 0
		.amdhsa_exception_fp_denorm_src 0
		.amdhsa_exception_fp_ieee_div_zero 0
		.amdhsa_exception_fp_ieee_overflow 0
		.amdhsa_exception_fp_ieee_underflow 0
		.amdhsa_exception_fp_ieee_inexact 0
		.amdhsa_exception_int_div_zero 0
	.end_amdhsa_kernel
	.section	.text._ZN9rocsparseL17csrilu0_binsearchILj256ELj32ELb0EdEEviPKiS2_PT2_S2_PiS2_S5_S5_d21rocsparse_index_base_imNS_24const_host_device_scalarIfEENS7_IdEENS7_IS3_EEb,"axG",@progbits,_ZN9rocsparseL17csrilu0_binsearchILj256ELj32ELb0EdEEviPKiS2_PT2_S2_PiS2_S5_S5_d21rocsparse_index_base_imNS_24const_host_device_scalarIfEENS7_IdEENS7_IS3_EEb,comdat
.Lfunc_end19:
	.size	_ZN9rocsparseL17csrilu0_binsearchILj256ELj32ELb0EdEEviPKiS2_PT2_S2_PiS2_S5_S5_d21rocsparse_index_base_imNS_24const_host_device_scalarIfEENS7_IdEENS7_IS3_EEb, .Lfunc_end19-_ZN9rocsparseL17csrilu0_binsearchILj256ELj32ELb0EdEEviPKiS2_PT2_S2_PiS2_S5_S5_d21rocsparse_index_base_imNS_24const_host_device_scalarIfEENS7_IdEENS7_IS3_EEb
                                        ; -- End function
	.set _ZN9rocsparseL17csrilu0_binsearchILj256ELj32ELb0EdEEviPKiS2_PT2_S2_PiS2_S5_S5_d21rocsparse_index_base_imNS_24const_host_device_scalarIfEENS7_IdEENS7_IS3_EEb.num_vgpr, 35
	.set _ZN9rocsparseL17csrilu0_binsearchILj256ELj32ELb0EdEEviPKiS2_PT2_S2_PiS2_S5_S5_d21rocsparse_index_base_imNS_24const_host_device_scalarIfEENS7_IdEENS7_IS3_EEb.num_agpr, 0
	.set _ZN9rocsparseL17csrilu0_binsearchILj256ELj32ELb0EdEEviPKiS2_PT2_S2_PiS2_S5_S5_d21rocsparse_index_base_imNS_24const_host_device_scalarIfEENS7_IdEENS7_IS3_EEb.numbered_sgpr, 38
	.set _ZN9rocsparseL17csrilu0_binsearchILj256ELj32ELb0EdEEviPKiS2_PT2_S2_PiS2_S5_S5_d21rocsparse_index_base_imNS_24const_host_device_scalarIfEENS7_IdEENS7_IS3_EEb.num_named_barrier, 0
	.set _ZN9rocsparseL17csrilu0_binsearchILj256ELj32ELb0EdEEviPKiS2_PT2_S2_PiS2_S5_S5_d21rocsparse_index_base_imNS_24const_host_device_scalarIfEENS7_IdEENS7_IS3_EEb.private_seg_size, 0
	.set _ZN9rocsparseL17csrilu0_binsearchILj256ELj32ELb0EdEEviPKiS2_PT2_S2_PiS2_S5_S5_d21rocsparse_index_base_imNS_24const_host_device_scalarIfEENS7_IdEENS7_IS3_EEb.uses_vcc, 1
	.set _ZN9rocsparseL17csrilu0_binsearchILj256ELj32ELb0EdEEviPKiS2_PT2_S2_PiS2_S5_S5_d21rocsparse_index_base_imNS_24const_host_device_scalarIfEENS7_IdEENS7_IS3_EEb.uses_flat_scratch, 0
	.set _ZN9rocsparseL17csrilu0_binsearchILj256ELj32ELb0EdEEviPKiS2_PT2_S2_PiS2_S5_S5_d21rocsparse_index_base_imNS_24const_host_device_scalarIfEENS7_IdEENS7_IS3_EEb.has_dyn_sized_stack, 0
	.set _ZN9rocsparseL17csrilu0_binsearchILj256ELj32ELb0EdEEviPKiS2_PT2_S2_PiS2_S5_S5_d21rocsparse_index_base_imNS_24const_host_device_scalarIfEENS7_IdEENS7_IS3_EEb.has_recursion, 0
	.set _ZN9rocsparseL17csrilu0_binsearchILj256ELj32ELb0EdEEviPKiS2_PT2_S2_PiS2_S5_S5_d21rocsparse_index_base_imNS_24const_host_device_scalarIfEENS7_IdEENS7_IS3_EEb.has_indirect_call, 0
	.section	.AMDGPU.csdata,"",@progbits
; Kernel info:
; codeLenInByte = 1556
; TotalNumSgprs: 42
; NumVgprs: 35
; ScratchSize: 0
; MemoryBound: 0
; FloatMode: 240
; IeeeMode: 1
; LDSByteSize: 0 bytes/workgroup (compile time only)
; SGPRBlocks: 5
; VGPRBlocks: 8
; NumSGPRsForWavesPerEU: 42
; NumVGPRsForWavesPerEU: 35
; Occupancy: 7
; WaveLimiterHint : 1
; COMPUTE_PGM_RSRC2:SCRATCH_EN: 0
; COMPUTE_PGM_RSRC2:USER_SGPR: 6
; COMPUTE_PGM_RSRC2:TRAP_HANDLER: 0
; COMPUTE_PGM_RSRC2:TGID_X_EN: 1
; COMPUTE_PGM_RSRC2:TGID_Y_EN: 0
; COMPUTE_PGM_RSRC2:TGID_Z_EN: 0
; COMPUTE_PGM_RSRC2:TIDIG_COMP_CNT: 0
	.section	.text._ZN9rocsparseL12csrilu0_hashILj256ELj64ELj1EdEEviPKiS2_PT2_S2_PiS2_S5_S5_d21rocsparse_index_base_imNS_24const_host_device_scalarIfEENS7_IdEENS7_IS3_EEb,"axG",@progbits,_ZN9rocsparseL12csrilu0_hashILj256ELj64ELj1EdEEviPKiS2_PT2_S2_PiS2_S5_S5_d21rocsparse_index_base_imNS_24const_host_device_scalarIfEENS7_IdEENS7_IS3_EEb,comdat
	.globl	_ZN9rocsparseL12csrilu0_hashILj256ELj64ELj1EdEEviPKiS2_PT2_S2_PiS2_S5_S5_d21rocsparse_index_base_imNS_24const_host_device_scalarIfEENS7_IdEENS7_IS3_EEb ; -- Begin function _ZN9rocsparseL12csrilu0_hashILj256ELj64ELj1EdEEviPKiS2_PT2_S2_PiS2_S5_S5_d21rocsparse_index_base_imNS_24const_host_device_scalarIfEENS7_IdEENS7_IS3_EEb
	.p2align	8
	.type	_ZN9rocsparseL12csrilu0_hashILj256ELj64ELj1EdEEviPKiS2_PT2_S2_PiS2_S5_S5_d21rocsparse_index_base_imNS_24const_host_device_scalarIfEENS7_IdEENS7_IS3_EEb,@function
_ZN9rocsparseL12csrilu0_hashILj256ELj64ELj1EdEEviPKiS2_PT2_S2_PiS2_S5_S5_d21rocsparse_index_base_imNS_24const_host_device_scalarIfEENS7_IdEENS7_IS3_EEb: ; @_ZN9rocsparseL12csrilu0_hashILj256ELj64ELj1EdEEviPKiS2_PT2_S2_PiS2_S5_S5_d21rocsparse_index_base_imNS_24const_host_device_scalarIfEENS7_IdEENS7_IS3_EEb
; %bb.0:
	s_load_dword s0, s[4:5], 0x78
	s_load_dwordx2 s[34:35], s[4:5], 0x50
	s_load_dwordx8 s[24:31], s[4:5], 0x58
	s_waitcnt lgkmcnt(0)
	s_bitcmp1_b32 s0, 0
	s_cselect_b64 s[0:1], -1, 0
	s_cmp_eq_u32 s35, 0
	s_cselect_b64 s[8:9], -1, 0
	s_cmp_lg_u32 s35, 0
	s_cselect_b64 s[2:3], -1, 0
	s_or_b64 s[0:1], s[8:9], s[0:1]
	s_xor_b64 s[10:11], s[0:1], -1
	s_and_b64 s[12:13], s[8:9], exec
	s_cselect_b32 s13, 0, s29
	s_cselect_b32 s12, 0, s28
	s_and_b64 vcc, exec, s[0:1]
	s_cbranch_vccnz .LBB20_2
; %bb.1:
	s_load_dword s0, s[26:27], 0x0
	s_mov_b64 s[12:13], s[28:29]
	s_waitcnt lgkmcnt(0)
	v_mov_b32_e32 v18, s0
	s_branch .LBB20_3
.LBB20_2:
	v_mov_b32_e32 v1, s26
	v_cndmask_b32_e64 v18, v1, 0, s[8:9]
.LBB20_3:
	v_cndmask_b32_e64 v1, 0, 1, s[10:11]
	v_mov_b32_e32 v2, s12
	v_cmp_ne_u32_e64 s[0:1], 1, v1
	s_andn2_b64 vcc, exec, s[10:11]
	v_mov_b32_e32 v3, s13
	s_cbranch_vccnz .LBB20_5
; %bb.4:
	v_mov_b32_e32 v1, s28
	v_mov_b32_e32 v2, s29
	flat_load_dwordx2 v[2:3], v[1:2]
.LBB20_5:
	s_and_b64 s[8:9], s[8:9], exec
	s_cselect_b32 s8, 0, s30
	s_cselect_b32 s9, 0, s31
	v_mov_b32_e32 v4, s8
	s_and_b64 vcc, exec, s[0:1]
	v_mov_b32_e32 v5, s9
	s_cbranch_vccnz .LBB20_7
; %bb.6:
	v_mov_b32_e32 v4, s30
	v_mov_b32_e32 v5, s31
	flat_load_dwordx2 v[4:5], v[4:5]
.LBB20_7:
	s_load_dword s0, s[4:5], 0x0
	s_lshl_b32 s1, s6, 2
	v_and_b32_e32 v17, 63, v0
	v_and_b32_e32 v8, 0xc0, v0
	v_mov_b32_e32 v1, 0x400
	v_lshrrev_b32_e32 v0, 6, v0
	s_and_b32 s1, s1, 0x3fffffc
	v_lshl_or_b32 v19, v8, 2, v1
	v_or_b32_e32 v0, s1, v0
	v_lshl_or_b32 v1, v17, 2, v19
	v_mov_b32_e32 v6, -1
	s_waitcnt lgkmcnt(0)
	v_cmp_gt_i32_e32 vcc, s0, v0
	ds_write_b32 v1, v6
	s_waitcnt lgkmcnt(0)
	s_and_saveexec_b64 s[0:1], vcc
	s_cbranch_execz .LBB20_79
; %bb.8:
	s_load_dwordx16 s[8:23], s[4:5], 0x8
	v_lshlrev_b32_e32 v0, 2, v0
	v_lshlrev_b32_e32 v20, 2, v8
	s_waitcnt lgkmcnt(0)
	global_load_dword v6, v0, s[18:19]
	v_mov_b32_e32 v10, s9
	v_mov_b32_e32 v12, s15
	s_waitcnt vmcnt(0)
	v_ashrrev_i32_e32 v7, 31, v6
	v_lshlrev_b64 v[0:1], 2, v[6:7]
	v_add_co_u32_e32 v9, vcc, s8, v0
	v_addc_co_u32_e32 v10, vcc, v10, v1, vcc
	global_load_dwordx2 v[9:10], v[9:10], off
	v_add_co_u32_e32 v11, vcc, s14, v0
	v_addc_co_u32_e32 v12, vcc, v12, v1, vcc
	global_load_dword v7, v[11:12], off
	s_waitcnt vmcnt(1)
	v_subrev_u32_e32 v8, s34, v9
	v_subrev_u32_e32 v11, s34, v10
	v_add_u32_e32 v9, v8, v17
	v_cmp_lt_i32_e32 vcc, v9, v11
	s_and_saveexec_b64 s[0:1], vcc
	s_cbranch_execz .LBB20_31
; %bb.9:
	s_mov_b64 s[6:7], 0
	v_mov_b32_e32 v12, s11
	v_mov_b32_e32 v13, -1
	s_branch .LBB20_11
.LBB20_10:                              ;   in Loop: Header=BB20_11 Depth=1
	s_or_b64 exec, exec, s[18:19]
	v_add_u32_e32 v9, 64, v9
	v_cmp_ge_i32_e32 vcc, v9, v11
	s_or_b64 s[6:7], vcc, s[6:7]
	s_andn2_b64 exec, exec, s[6:7]
	s_cbranch_execz .LBB20_31
.LBB20_11:                              ; =>This Loop Header: Depth=1
                                        ;     Child Loop BB20_20 Depth 2
	v_ashrrev_i32_e32 v10, 31, v9
	v_lshlrev_b64 v[14:15], 2, v[9:10]
	s_mov_b64 s[26:27], 0
	v_add_co_u32_e32 v14, vcc, s10, v14
	v_addc_co_u32_e32 v15, vcc, v12, v15, vcc
	global_load_dword v10, v[14:15], off
	v_mov_b32_e32 v14, 64
                                        ; implicit-def: $sgpr18_sgpr19
                                        ; implicit-def: $sgpr28_sgpr29
                                        ; implicit-def: $sgpr30_sgpr31
	s_waitcnt vmcnt(0)
	v_mul_lo_u32 v16, v10, 39
	s_branch .LBB20_20
.LBB20_12:                              ;   in Loop: Header=BB20_20 Depth=2
	s_or_b64 exec, exec, s[54:55]
	s_orn2_b64 s[50:51], s[50:51], exec
	s_orn2_b64 s[52:53], s[52:53], exec
.LBB20_13:                              ;   in Loop: Header=BB20_20 Depth=2
	s_or_b64 exec, exec, s[48:49]
	s_and_b64 s[50:51], s[50:51], exec
	s_orn2_b64 s[48:49], s[52:53], exec
.LBB20_14:                              ;   in Loop: Header=BB20_20 Depth=2
	s_or_b64 exec, exec, s[46:47]
	s_orn2_b64 s[50:51], s[50:51], exec
	s_orn2_b64 s[46:47], s[48:49], exec
.LBB20_15:                              ;   in Loop: Header=BB20_20 Depth=2
	s_or_b64 exec, exec, s[44:45]
	s_and_b64 s[48:49], s[50:51], exec
	s_orn2_b64 s[44:45], s[46:47], exec
.LBB20_16:                              ;   in Loop: Header=BB20_20 Depth=2
	s_or_b64 exec, exec, s[42:43]
	s_orn2_b64 s[42:43], s[48:49], exec
	s_orn2_b64 s[44:45], s[44:45], exec
.LBB20_17:                              ;   in Loop: Header=BB20_20 Depth=2
	s_or_b64 exec, exec, s[40:41]
	s_and_b64 s[42:43], s[42:43], exec
	s_orn2_b64 s[40:41], s[44:45], exec
.LBB20_18:                              ;   in Loop: Header=BB20_20 Depth=2
	s_or_b64 exec, exec, s[38:39]
	s_andn2_b64 s[30:31], s[30:31], exec
	s_and_b64 s[38:39], s[42:43], exec
	s_or_b64 s[30:31], s[30:31], s[38:39]
	s_andn2_b64 s[28:29], s[28:29], exec
	s_and_b64 s[38:39], s[40:41], exec
	s_or_b64 s[28:29], s[28:29], s[38:39]
.LBB20_19:                              ;   in Loop: Header=BB20_20 Depth=2
	s_or_b64 exec, exec, s[36:37]
	s_and_b64 s[36:37], exec, s[28:29]
	s_or_b64 s[26:27], s[36:37], s[26:27]
	s_andn2_b64 s[18:19], s[18:19], exec
	s_and_b64 s[36:37], s[30:31], exec
	s_or_b64 s[18:19], s[18:19], s[36:37]
	s_andn2_b64 exec, exec, s[26:27]
	s_cbranch_execz .LBB20_29
.LBB20_20:                              ;   Parent Loop BB20_11 Depth=1
                                        ; =>  This Inner Loop Header: Depth=2
	v_and_b32_e32 v15, 63, v16
	v_lshl_add_u32 v21, v15, 2, v19
	ds_read_b32 v22, v21
	s_or_b64 s[30:31], s[30:31], exec
	s_or_b64 s[28:29], s[28:29], exec
	s_waitcnt lgkmcnt(0)
	v_cmp_ne_u32_e32 vcc, v22, v10
	s_and_saveexec_b64 s[36:37], vcc
	s_cbranch_execz .LBB20_19
; %bb.21:                               ;   in Loop: Header=BB20_20 Depth=2
	ds_cmpst_rtn_b32 v21, v21, v13, v10
	s_mov_b64 s[40:41], -1
	s_mov_b64 s[42:43], 0
	s_waitcnt lgkmcnt(0)
	v_cmp_ne_u32_e32 vcc, -1, v21
	s_and_saveexec_b64 s[38:39], vcc
	s_cbranch_execz .LBB20_18
; %bb.22:                               ;   in Loop: Header=BB20_20 Depth=2
	v_add_u32_e32 v15, 1, v16
	v_and_b32_e32 v15, 63, v15
	v_lshl_add_u32 v21, v15, 2, v19
	ds_read_b32 v22, v21
	s_mov_b64 s[44:45], -1
	s_mov_b64 s[42:43], -1
	s_waitcnt lgkmcnt(0)
	v_cmp_ne_u32_e32 vcc, v22, v10
	s_and_saveexec_b64 s[40:41], vcc
	s_cbranch_execz .LBB20_17
; %bb.23:                               ;   in Loop: Header=BB20_20 Depth=2
	ds_cmpst_rtn_b32 v21, v21, v13, v10
	s_mov_b64 s[48:49], 0
	s_waitcnt lgkmcnt(0)
	v_cmp_ne_u32_e32 vcc, -1, v21
	s_and_saveexec_b64 s[42:43], vcc
	s_cbranch_execz .LBB20_16
; %bb.24:                               ;   in Loop: Header=BB20_20 Depth=2
	v_add_u32_e32 v15, 2, v16
	v_and_b32_e32 v15, 63, v15
	v_lshl_add_u32 v21, v15, 2, v19
	ds_read_b32 v22, v21
	s_mov_b64 s[46:47], -1
	s_mov_b64 s[50:51], -1
	s_waitcnt lgkmcnt(0)
	v_cmp_ne_u32_e32 vcc, v22, v10
	s_and_saveexec_b64 s[44:45], vcc
	s_cbranch_execz .LBB20_15
; %bb.25:                               ;   in Loop: Header=BB20_20 Depth=2
	ds_cmpst_rtn_b32 v21, v21, v13, v10
	s_mov_b64 s[48:49], -1
	s_mov_b64 s[50:51], 0
	s_waitcnt lgkmcnt(0)
	v_cmp_ne_u32_e32 vcc, -1, v21
	s_and_saveexec_b64 s[46:47], vcc
	s_cbranch_execz .LBB20_14
; %bb.26:                               ;   in Loop: Header=BB20_20 Depth=2
	v_add_u32_e32 v15, 3, v16
	v_and_b32_e32 v15, 63, v15
	v_lshl_add_u32 v21, v15, 2, v19
	ds_read_b32 v16, v21
	s_mov_b64 s[52:53], -1
	s_mov_b64 s[50:51], -1
	s_waitcnt lgkmcnt(0)
	v_cmp_ne_u32_e32 vcc, v16, v10
                                        ; implicit-def: $vgpr16
	s_and_saveexec_b64 s[48:49], vcc
	s_cbranch_execz .LBB20_13
; %bb.27:                               ;   in Loop: Header=BB20_20 Depth=2
	ds_cmpst_rtn_b32 v16, v21, v13, v10
	s_mov_b64 s[50:51], 0
	s_waitcnt lgkmcnt(0)
	v_cmp_ne_u32_e32 vcc, -1, v16
                                        ; implicit-def: $vgpr16
	s_and_saveexec_b64 s[54:55], vcc
	s_cbranch_execz .LBB20_12
; %bb.28:                               ;   in Loop: Header=BB20_20 Depth=2
	v_add_u32_e32 v14, -4, v14
	v_cmp_eq_u32_e32 vcc, 0, v14
	s_mov_b64 s[50:51], exec
	v_add_u32_e32 v16, 1, v15
	s_orn2_b64 s[52:53], vcc, exec
	s_branch .LBB20_12
.LBB20_29:                              ;   in Loop: Header=BB20_11 Depth=1
	s_or_b64 exec, exec, s[26:27]
	s_xor_b64 s[18:19], s[18:19], -1
	s_and_saveexec_b64 s[26:27], s[18:19]
	s_xor_b64 s[18:19], exec, s[26:27]
	s_cbranch_execz .LBB20_10
; %bb.30:                               ;   in Loop: Header=BB20_11 Depth=1
	v_lshl_add_u32 v10, v15, 2, v20
	ds_write_b32 v10, v9
	s_branch .LBB20_10
.LBB20_31:
	s_or_b64 exec, exec, s[0:1]
	s_waitcnt vmcnt(0)
	v_cmp_lt_i32_e32 vcc, v8, v7
	s_waitcnt lgkmcnt(0)
	s_and_saveexec_b64 s[0:1], vcc
	s_cbranch_execz .LBB20_61
; %bb.32:
	s_mov_b64 s[6:7], 0
	v_mov_b32_e32 v21, s11
	v_mov_b32_e32 v22, s13
	;; [unrolled: 1-line block ×5, first 2 shown]
	s_branch .LBB20_35
.LBB20_33:                              ;   in Loop: Header=BB20_35 Depth=1
	s_or_b64 exec, exec, s[26:27]
	v_add_u32_e32 v8, 1, v8
	v_cmp_ge_i32_e32 vcc, v8, v7
	s_orn2_b64 s[26:27], vcc, exec
.LBB20_34:                              ;   in Loop: Header=BB20_35 Depth=1
	s_or_b64 exec, exec, s[18:19]
	s_and_b64 s[18:19], exec, s[26:27]
	s_or_b64 s[6:7], s[18:19], s[6:7]
	s_andn2_b64 exec, exec, s[6:7]
	s_cbranch_execz .LBB20_61
.LBB20_35:                              ; =>This Loop Header: Depth=1
                                        ;     Child Loop BB20_36 Depth 2
                                        ;     Child Loop BB20_41 Depth 2
                                        ;       Child Loop BB20_50 Depth 3
	v_ashrrev_i32_e32 v9, 31, v8
	v_lshlrev_b64 v[10:11], 2, v[8:9]
	s_mov_b64 s[18:19], 0
	v_add_co_u32_e32 v10, vcc, s10, v10
	v_addc_co_u32_e32 v11, vcc, v21, v11, vcc
	global_load_dword v11, v[10:11], off
	v_lshlrev_b64 v[9:10], 3, v[8:9]
	v_add_co_u32_e32 v12, vcc, s12, v9
	v_addc_co_u32_e32 v13, vcc, v22, v10, vcc
	global_load_dwordx2 v[9:10], v[12:13], off
	s_waitcnt vmcnt(1)
	v_subrev_u32_e32 v14, s34, v11
	v_ashrrev_i32_e32 v15, 31, v14
	v_lshlrev_b64 v[14:15], 2, v[14:15]
	v_add_co_u32_e32 v26, vcc, s8, v14
	v_addc_co_u32_e32 v27, vcc, v23, v15, vcc
	v_add_co_u32_e32 v28, vcc, s14, v14
	v_addc_co_u32_e32 v29, vcc, v24, v15, vcc
	global_load_dword v11, v[26:27], off offset:4
	global_load_dword v16, v[28:29], off
	v_add_co_u32_e32 v14, vcc, s16, v14
	v_addc_co_u32_e32 v15, vcc, v25, v15, vcc
.LBB20_36:                              ;   Parent Loop BB20_35 Depth=1
                                        ; =>  This Inner Loop Header: Depth=2
	global_load_dword v26, v[14:15], off glc
	s_waitcnt vmcnt(0)
	v_cmp_ne_u32_e32 vcc, 0, v26
	s_or_b64 s[18:19], vcc, s[18:19]
	s_andn2_b64 exec, exec, s[18:19]
	s_cbranch_execnz .LBB20_36
; %bb.37:                               ;   in Loop: Header=BB20_35 Depth=1
	s_or_b64 exec, exec, s[18:19]
	v_subrev_u32_e32 v26, s34, v11
	v_add_u32_e32 v11, -1, v26
	v_cmp_eq_u32_e32 vcc, -1, v16
	v_cndmask_b32_e32 v14, v16, v11, vcc
	v_ashrrev_i32_e32 v15, 31, v14
	v_lshlrev_b64 v[15:16], 3, v[14:15]
	buffer_wbinvl1_vol
	v_add_co_u32_e32 v15, vcc, s12, v15
	v_addc_co_u32_e32 v16, vcc, v22, v16, vcc
	global_load_dwordx2 v[15:16], v[15:16], off
	s_mov_b64 s[26:27], -1
	s_waitcnt vmcnt(0)
	v_cmp_neq_f64_e32 vcc, 0, v[15:16]
	s_and_saveexec_b64 s[18:19], vcc
	s_cbranch_execz .LBB20_34
; %bb.38:                               ;   in Loop: Header=BB20_35 Depth=1
	v_div_scale_f64 v[27:28], s[26:27], v[15:16], v[15:16], v[9:10]
	v_add_u32_e32 v11, 1, v17
	v_add_u32_e32 v11, v11, v14
	v_rcp_f64_e32 v[29:30], v[27:28]
	v_fma_f64 v[31:32], -v[27:28], v[29:30], 1.0
	v_fma_f64 v[29:30], v[29:30], v[31:32], v[29:30]
	v_div_scale_f64 v[31:32], vcc, v[9:10], v[15:16], v[9:10]
	v_fma_f64 v[33:34], -v[27:28], v[29:30], 1.0
	v_fma_f64 v[29:30], v[29:30], v[33:34], v[29:30]
	v_mul_f64 v[33:34], v[31:32], v[29:30]
	v_fma_f64 v[27:28], -v[27:28], v[33:34], v[31:32]
	v_div_fmas_f64 v[27:28], v[27:28], v[29:30], v[33:34]
	v_cmp_lt_i32_e32 vcc, v11, v26
	v_div_fixup_f64 v[9:10], v[27:28], v[15:16], v[9:10]
	global_store_dwordx2 v[12:13], v[9:10], off
	s_and_saveexec_b64 s[26:27], vcc
	s_cbranch_execz .LBB20_33
; %bb.39:                               ;   in Loop: Header=BB20_35 Depth=1
	s_mov_b64 s[28:29], 0
	s_branch .LBB20_41
.LBB20_40:                              ;   in Loop: Header=BB20_41 Depth=2
	s_or_b64 exec, exec, s[30:31]
	v_add_u32_e32 v11, 64, v11
	v_cmp_ge_i32_e32 vcc, v11, v26
	s_or_b64 s[28:29], vcc, s[28:29]
	s_andn2_b64 exec, exec, s[28:29]
	s_cbranch_execz .LBB20_33
.LBB20_41:                              ;   Parent Loop BB20_35 Depth=1
                                        ; =>  This Loop Header: Depth=2
                                        ;       Child Loop BB20_50 Depth 3
	v_ashrrev_i32_e32 v12, 31, v11
	v_lshlrev_b64 v[13:14], 2, v[11:12]
	v_mov_b32_e32 v15, s11
	v_add_co_u32_e32 v13, vcc, s10, v13
	v_addc_co_u32_e32 v14, vcc, v15, v14, vcc
	global_load_dword v13, v[13:14], off
	v_mov_b32_e32 v14, 64
	s_mov_b64 s[36:37], 0
                                        ; implicit-def: $sgpr30_sgpr31
                                        ; implicit-def: $sgpr38_sgpr39
                                        ; implicit-def: $sgpr40_sgpr41
	s_waitcnt vmcnt(0)
	v_mul_lo_u32 v16, v13, 39
	s_branch .LBB20_50
.LBB20_42:                              ;   in Loop: Header=BB20_50 Depth=3
	s_or_b64 exec, exec, s[60:61]
	s_orn2_b64 s[56:57], s[56:57], exec
	s_orn2_b64 s[58:59], s[58:59], exec
.LBB20_43:                              ;   in Loop: Header=BB20_50 Depth=3
	s_or_b64 exec, exec, s[54:55]
	s_and_b64 s[56:57], s[56:57], exec
	s_orn2_b64 s[54:55], s[58:59], exec
.LBB20_44:                              ;   in Loop: Header=BB20_50 Depth=3
	s_or_b64 exec, exec, s[52:53]
	s_orn2_b64 s[56:57], s[56:57], exec
	s_orn2_b64 s[52:53], s[54:55], exec
.LBB20_45:                              ;   in Loop: Header=BB20_50 Depth=3
	s_or_b64 exec, exec, s[50:51]
	s_and_b64 s[54:55], s[56:57], exec
	s_orn2_b64 s[50:51], s[52:53], exec
.LBB20_46:                              ;   in Loop: Header=BB20_50 Depth=3
	s_or_b64 exec, exec, s[48:49]
	s_orn2_b64 s[48:49], s[54:55], exec
	s_orn2_b64 s[50:51], s[50:51], exec
.LBB20_47:                              ;   in Loop: Header=BB20_50 Depth=3
	s_or_b64 exec, exec, s[46:47]
	s_and_b64 s[48:49], s[48:49], exec
	s_orn2_b64 s[46:47], s[50:51], exec
.LBB20_48:                              ;   in Loop: Header=BB20_50 Depth=3
	s_or_b64 exec, exec, s[44:45]
	s_andn2_b64 s[40:41], s[40:41], exec
	s_and_b64 s[44:45], s[48:49], exec
	s_or_b64 s[40:41], s[40:41], s[44:45]
	s_andn2_b64 s[38:39], s[38:39], exec
	s_and_b64 s[44:45], s[46:47], exec
	s_or_b64 s[38:39], s[38:39], s[44:45]
.LBB20_49:                              ;   in Loop: Header=BB20_50 Depth=3
	s_or_b64 exec, exec, s[42:43]
	s_and_b64 s[42:43], exec, s[38:39]
	s_or_b64 s[36:37], s[42:43], s[36:37]
	s_andn2_b64 s[30:31], s[30:31], exec
	s_and_b64 s[42:43], s[40:41], exec
	s_or_b64 s[30:31], s[30:31], s[42:43]
	s_andn2_b64 exec, exec, s[36:37]
	s_cbranch_execz .LBB20_59
.LBB20_50:                              ;   Parent Loop BB20_35 Depth=1
                                        ;     Parent Loop BB20_41 Depth=2
                                        ; =>    This Inner Loop Header: Depth=3
	v_and_b32_e32 v15, 63, v16
	v_lshl_add_u32 v27, v15, 2, v19
	ds_read_b32 v27, v27
	s_or_b64 s[40:41], s[40:41], exec
	s_or_b64 s[38:39], s[38:39], exec
	s_waitcnt lgkmcnt(0)
	v_cmp_ne_u32_e32 vcc, -1, v27
	s_and_saveexec_b64 s[42:43], vcc
	s_cbranch_execz .LBB20_49
; %bb.51:                               ;   in Loop: Header=BB20_50 Depth=3
	v_cmp_ne_u32_e32 vcc, v27, v13
	s_mov_b64 s[46:47], -1
	s_mov_b64 s[48:49], 0
	s_and_saveexec_b64 s[44:45], vcc
	s_cbranch_execz .LBB20_48
; %bb.52:                               ;   in Loop: Header=BB20_50 Depth=3
	v_add_u32_e32 v15, 1, v16
	v_and_b32_e32 v15, 63, v15
	v_lshl_add_u32 v27, v15, 2, v19
	ds_read_b32 v27, v27
	s_mov_b64 s[50:51], -1
	s_mov_b64 s[48:49], -1
	s_waitcnt lgkmcnt(0)
	v_cmp_ne_u32_e32 vcc, -1, v27
	s_and_saveexec_b64 s[46:47], vcc
	s_cbranch_execz .LBB20_47
; %bb.53:                               ;   in Loop: Header=BB20_50 Depth=3
	v_cmp_ne_u32_e32 vcc, v27, v13
	s_mov_b64 s[54:55], 0
	s_and_saveexec_b64 s[48:49], vcc
	s_cbranch_execz .LBB20_46
; %bb.54:                               ;   in Loop: Header=BB20_50 Depth=3
	v_add_u32_e32 v15, 2, v16
	v_and_b32_e32 v15, 63, v15
	v_lshl_add_u32 v27, v15, 2, v19
	ds_read_b32 v27, v27
	s_mov_b64 s[52:53], -1
	s_mov_b64 s[56:57], -1
	s_waitcnt lgkmcnt(0)
	v_cmp_ne_u32_e32 vcc, -1, v27
	s_and_saveexec_b64 s[50:51], vcc
	s_cbranch_execz .LBB20_45
; %bb.55:                               ;   in Loop: Header=BB20_50 Depth=3
	v_cmp_ne_u32_e32 vcc, v27, v13
	s_mov_b64 s[54:55], -1
	s_mov_b64 s[56:57], 0
	s_and_saveexec_b64 s[52:53], vcc
	s_cbranch_execz .LBB20_44
; %bb.56:                               ;   in Loop: Header=BB20_50 Depth=3
	v_add_u32_e32 v15, 3, v16
	v_and_b32_e32 v15, 63, v15
	v_lshl_add_u32 v16, v15, 2, v19
	ds_read_b32 v27, v16
	s_mov_b64 s[58:59], -1
	s_mov_b64 s[56:57], -1
                                        ; implicit-def: $vgpr16
	s_waitcnt lgkmcnt(0)
	v_cmp_ne_u32_e32 vcc, -1, v27
	s_and_saveexec_b64 s[54:55], vcc
	s_cbranch_execz .LBB20_43
; %bb.57:                               ;   in Loop: Header=BB20_50 Depth=3
	v_cmp_ne_u32_e32 vcc, v27, v13
	s_mov_b64 s[56:57], 0
                                        ; implicit-def: $vgpr16
	s_and_saveexec_b64 s[60:61], vcc
	s_cbranch_execz .LBB20_42
; %bb.58:                               ;   in Loop: Header=BB20_50 Depth=3
	v_add_u32_e32 v14, -4, v14
	v_cmp_eq_u32_e32 vcc, 0, v14
	s_mov_b64 s[56:57], exec
	v_add_u32_e32 v16, 1, v15
	s_orn2_b64 s[58:59], vcc, exec
	s_branch .LBB20_42
.LBB20_59:                              ;   in Loop: Header=BB20_41 Depth=2
	s_or_b64 exec, exec, s[36:37]
	s_xor_b64 s[30:31], s[30:31], -1
	s_and_saveexec_b64 s[36:37], s[30:31]
	s_xor_b64 s[30:31], exec, s[36:37]
	s_cbranch_execz .LBB20_40
; %bb.60:                               ;   in Loop: Header=BB20_41 Depth=2
	v_lshl_add_u32 v13, v15, 2, v20
	ds_read_b32 v13, v13
	v_lshlrev_b64 v[15:16], 3, v[11:12]
	v_mov_b32_e32 v27, s13
	v_add_co_u32_e32 v15, vcc, s12, v15
	s_waitcnt lgkmcnt(0)
	v_ashrrev_i32_e32 v14, 31, v13
	v_lshlrev_b64 v[12:13], 3, v[13:14]
	v_addc_co_u32_e32 v16, vcc, v27, v16, vcc
	v_add_co_u32_e32 v12, vcc, s12, v12
	v_addc_co_u32_e32 v13, vcc, v27, v13, vcc
	global_load_dwordx2 v[27:28], v[15:16], off
	global_load_dwordx2 v[29:30], v[12:13], off
	s_waitcnt vmcnt(0)
	v_fma_f64 v[14:15], -v[9:10], v[27:28], v[29:30]
	global_store_dwordx2 v[12:13], v[14:15], off
	s_branch .LBB20_40
.LBB20_61:
	s_or_b64 exec, exec, s[0:1]
	v_cmp_lt_i32_e32 vcc, -1, v7
	s_and_saveexec_b64 s[6:7], vcc
	s_cbranch_execz .LBB20_77
; %bb.62:
	v_mov_b32_e32 v8, 0
	v_lshlrev_b64 v[7:8], 3, v[7:8]
	v_mov_b32_e32 v10, s13
	v_add_co_u32_e32 v9, vcc, s12, v7
	v_addc_co_u32_e32 v10, vcc, v10, v8, vcc
	global_load_dwordx2 v[7:8], v[9:10], off
	s_andn2_b64 vcc, exec, s[2:3]
	v_cmp_eq_u32_e64 s[0:1], 0, v17
	s_waitcnt vmcnt(0)
	v_cmp_gt_f64_e64 s[2:3], 0, v[7:8]
	v_xor_b32_e32 v12, 0x80000000, v8
	v_mov_b32_e32 v11, v7
	v_cndmask_b32_e64 v12, v8, v12, s[2:3]
	s_mov_b64 s[2:3], -1
	s_cbranch_vccnz .LBB20_66
; %bb.63:
	v_cvt_f64_f32_e32 v[13:14], v18
	s_cmp_eq_u64 s[24:25], 8
	s_cselect_b64 vcc, -1, 0
	v_cndmask_b32_e32 v3, v14, v3, vcc
	v_cndmask_b32_e32 v2, v13, v2, vcc
	v_cmp_le_f64_e32 vcc, v[11:12], v[2:3]
	s_and_b64 s[8:9], s[0:1], vcc
	s_and_saveexec_b64 s[2:3], s[8:9]
	s_cbranch_execz .LBB20_65
; %bb.64:
	global_store_dwordx2 v[9:10], v[4:5], off
	s_waitcnt vmcnt(0)
	buffer_wbinvl1_vol
.LBB20_65:
	s_or_b64 exec, exec, s[2:3]
	s_mov_b64 s[2:3], 0
.LBB20_66:
	s_andn2_b64 vcc, exec, s[2:3]
	s_cbranch_vccnz .LBB20_77
; %bb.67:
	s_load_dwordx2 s[2:3], s[4:5], 0x48
	v_add_u32_e32 v2, s34, v6
	s_waitcnt lgkmcnt(0)
	v_cmp_ge_f64_e32 vcc, s[2:3], v[11:12]
	s_and_b64 s[4:5], s[0:1], vcc
	s_and_saveexec_b64 s[2:3], s[4:5]
	s_cbranch_execz .LBB20_72
; %bb.68:
	s_mov_b64 s[4:5], exec
	s_brev_b32 s8, -2
.LBB20_69:                              ; =>This Inner Loop Header: Depth=1
	s_ff1_i32_b64 s9, s[4:5]
	v_readlane_b32 s12, v2, s9
	s_lshl_b64 s[10:11], 1, s9
	s_min_i32 s8, s8, s12
	s_andn2_b64 s[4:5], s[4:5], s[10:11]
	s_cmp_lg_u64 s[4:5], 0
	s_cbranch_scc1 .LBB20_69
; %bb.70:
	v_mbcnt_lo_u32_b32 v3, exec_lo, 0
	v_mbcnt_hi_u32_b32 v3, exec_hi, v3
	v_cmp_eq_u32_e32 vcc, 0, v3
	s_and_saveexec_b64 s[4:5], vcc
	s_xor_b64 s[4:5], exec, s[4:5]
	s_cbranch_execz .LBB20_72
; %bb.71:
	v_mov_b32_e32 v3, 0
	v_mov_b32_e32 v4, s8
	global_atomic_smin v3, v4, s[22:23]
.LBB20_72:
	s_or_b64 exec, exec, s[2:3]
	v_cmp_eq_f64_e32 vcc, 0, v[7:8]
	s_and_b64 s[0:1], s[0:1], vcc
	s_and_b64 exec, exec, s[0:1]
	s_cbranch_execz .LBB20_77
; %bb.73:
	s_mov_b64 s[0:1], exec
	s_brev_b32 s2, -2
.LBB20_74:                              ; =>This Inner Loop Header: Depth=1
	s_ff1_i32_b64 s3, s[0:1]
	v_readlane_b32 s8, v2, s3
	s_lshl_b64 s[4:5], 1, s3
	s_min_i32 s2, s2, s8
	s_andn2_b64 s[0:1], s[0:1], s[4:5]
	s_cmp_lg_u64 s[0:1], 0
	s_cbranch_scc1 .LBB20_74
; %bb.75:
	v_mbcnt_lo_u32_b32 v2, exec_lo, 0
	v_mbcnt_hi_u32_b32 v2, exec_hi, v2
	v_cmp_eq_u32_e32 vcc, 0, v2
	s_and_saveexec_b64 s[0:1], vcc
	s_xor_b64 s[0:1], exec, s[0:1]
	s_cbranch_execz .LBB20_77
; %bb.76:
	v_mov_b32_e32 v2, 0
	v_mov_b32_e32 v3, s2
	global_atomic_smin v2, v3, s[20:21]
.LBB20_77:
	s_or_b64 exec, exec, s[6:7]
	v_cmp_eq_u32_e32 vcc, 0, v17
	s_waitcnt vmcnt(0)
	buffer_wbinvl1_vol
	s_and_b64 exec, exec, vcc
	s_cbranch_execz .LBB20_79
; %bb.78:
	v_mov_b32_e32 v2, s17
	v_add_co_u32_e32 v0, vcc, s16, v0
	v_addc_co_u32_e32 v1, vcc, v2, v1, vcc
	v_mov_b32_e32 v2, 1
	global_store_dword v[0:1], v2, off
.LBB20_79:
	s_endpgm
	.section	.rodata,"a",@progbits
	.p2align	6, 0x0
	.amdhsa_kernel _ZN9rocsparseL12csrilu0_hashILj256ELj64ELj1EdEEviPKiS2_PT2_S2_PiS2_S5_S5_d21rocsparse_index_base_imNS_24const_host_device_scalarIfEENS7_IdEENS7_IS3_EEb
		.amdhsa_group_segment_fixed_size 2048
		.amdhsa_private_segment_fixed_size 0
		.amdhsa_kernarg_size 124
		.amdhsa_user_sgpr_count 6
		.amdhsa_user_sgpr_private_segment_buffer 1
		.amdhsa_user_sgpr_dispatch_ptr 0
		.amdhsa_user_sgpr_queue_ptr 0
		.amdhsa_user_sgpr_kernarg_segment_ptr 1
		.amdhsa_user_sgpr_dispatch_id 0
		.amdhsa_user_sgpr_flat_scratch_init 0
		.amdhsa_user_sgpr_private_segment_size 0
		.amdhsa_uses_dynamic_stack 0
		.amdhsa_system_sgpr_private_segment_wavefront_offset 0
		.amdhsa_system_sgpr_workgroup_id_x 1
		.amdhsa_system_sgpr_workgroup_id_y 0
		.amdhsa_system_sgpr_workgroup_id_z 0
		.amdhsa_system_sgpr_workgroup_info 0
		.amdhsa_system_vgpr_workitem_id 0
		.amdhsa_next_free_vgpr 35
		.amdhsa_next_free_sgpr 62
		.amdhsa_reserve_vcc 1
		.amdhsa_reserve_flat_scratch 0
		.amdhsa_float_round_mode_32 0
		.amdhsa_float_round_mode_16_64 0
		.amdhsa_float_denorm_mode_32 3
		.amdhsa_float_denorm_mode_16_64 3
		.amdhsa_dx10_clamp 1
		.amdhsa_ieee_mode 1
		.amdhsa_fp16_overflow 0
		.amdhsa_exception_fp_ieee_invalid_op 0
		.amdhsa_exception_fp_denorm_src 0
		.amdhsa_exception_fp_ieee_div_zero 0
		.amdhsa_exception_fp_ieee_overflow 0
		.amdhsa_exception_fp_ieee_underflow 0
		.amdhsa_exception_fp_ieee_inexact 0
		.amdhsa_exception_int_div_zero 0
	.end_amdhsa_kernel
	.section	.text._ZN9rocsparseL12csrilu0_hashILj256ELj64ELj1EdEEviPKiS2_PT2_S2_PiS2_S5_S5_d21rocsparse_index_base_imNS_24const_host_device_scalarIfEENS7_IdEENS7_IS3_EEb,"axG",@progbits,_ZN9rocsparseL12csrilu0_hashILj256ELj64ELj1EdEEviPKiS2_PT2_S2_PiS2_S5_S5_d21rocsparse_index_base_imNS_24const_host_device_scalarIfEENS7_IdEENS7_IS3_EEb,comdat
.Lfunc_end20:
	.size	_ZN9rocsparseL12csrilu0_hashILj256ELj64ELj1EdEEviPKiS2_PT2_S2_PiS2_S5_S5_d21rocsparse_index_base_imNS_24const_host_device_scalarIfEENS7_IdEENS7_IS3_EEb, .Lfunc_end20-_ZN9rocsparseL12csrilu0_hashILj256ELj64ELj1EdEEviPKiS2_PT2_S2_PiS2_S5_S5_d21rocsparse_index_base_imNS_24const_host_device_scalarIfEENS7_IdEENS7_IS3_EEb
                                        ; -- End function
	.set _ZN9rocsparseL12csrilu0_hashILj256ELj64ELj1EdEEviPKiS2_PT2_S2_PiS2_S5_S5_d21rocsparse_index_base_imNS_24const_host_device_scalarIfEENS7_IdEENS7_IS3_EEb.num_vgpr, 35
	.set _ZN9rocsparseL12csrilu0_hashILj256ELj64ELj1EdEEviPKiS2_PT2_S2_PiS2_S5_S5_d21rocsparse_index_base_imNS_24const_host_device_scalarIfEENS7_IdEENS7_IS3_EEb.num_agpr, 0
	.set _ZN9rocsparseL12csrilu0_hashILj256ELj64ELj1EdEEviPKiS2_PT2_S2_PiS2_S5_S5_d21rocsparse_index_base_imNS_24const_host_device_scalarIfEENS7_IdEENS7_IS3_EEb.numbered_sgpr, 62
	.set _ZN9rocsparseL12csrilu0_hashILj256ELj64ELj1EdEEviPKiS2_PT2_S2_PiS2_S5_S5_d21rocsparse_index_base_imNS_24const_host_device_scalarIfEENS7_IdEENS7_IS3_EEb.num_named_barrier, 0
	.set _ZN9rocsparseL12csrilu0_hashILj256ELj64ELj1EdEEviPKiS2_PT2_S2_PiS2_S5_S5_d21rocsparse_index_base_imNS_24const_host_device_scalarIfEENS7_IdEENS7_IS3_EEb.private_seg_size, 0
	.set _ZN9rocsparseL12csrilu0_hashILj256ELj64ELj1EdEEviPKiS2_PT2_S2_PiS2_S5_S5_d21rocsparse_index_base_imNS_24const_host_device_scalarIfEENS7_IdEENS7_IS3_EEb.uses_vcc, 1
	.set _ZN9rocsparseL12csrilu0_hashILj256ELj64ELj1EdEEviPKiS2_PT2_S2_PiS2_S5_S5_d21rocsparse_index_base_imNS_24const_host_device_scalarIfEENS7_IdEENS7_IS3_EEb.uses_flat_scratch, 0
	.set _ZN9rocsparseL12csrilu0_hashILj256ELj64ELj1EdEEviPKiS2_PT2_S2_PiS2_S5_S5_d21rocsparse_index_base_imNS_24const_host_device_scalarIfEENS7_IdEENS7_IS3_EEb.has_dyn_sized_stack, 0
	.set _ZN9rocsparseL12csrilu0_hashILj256ELj64ELj1EdEEviPKiS2_PT2_S2_PiS2_S5_S5_d21rocsparse_index_base_imNS_24const_host_device_scalarIfEENS7_IdEENS7_IS3_EEb.has_recursion, 0
	.set _ZN9rocsparseL12csrilu0_hashILj256ELj64ELj1EdEEviPKiS2_PT2_S2_PiS2_S5_S5_d21rocsparse_index_base_imNS_24const_host_device_scalarIfEENS7_IdEENS7_IS3_EEb.has_indirect_call, 0
	.section	.AMDGPU.csdata,"",@progbits
; Kernel info:
; codeLenInByte = 2512
; TotalNumSgprs: 66
; NumVgprs: 35
; ScratchSize: 0
; MemoryBound: 0
; FloatMode: 240
; IeeeMode: 1
; LDSByteSize: 2048 bytes/workgroup (compile time only)
; SGPRBlocks: 8
; VGPRBlocks: 8
; NumSGPRsForWavesPerEU: 66
; NumVGPRsForWavesPerEU: 35
; Occupancy: 7
; WaveLimiterHint : 1
; COMPUTE_PGM_RSRC2:SCRATCH_EN: 0
; COMPUTE_PGM_RSRC2:USER_SGPR: 6
; COMPUTE_PGM_RSRC2:TRAP_HANDLER: 0
; COMPUTE_PGM_RSRC2:TGID_X_EN: 1
; COMPUTE_PGM_RSRC2:TGID_Y_EN: 0
; COMPUTE_PGM_RSRC2:TGID_Z_EN: 0
; COMPUTE_PGM_RSRC2:TIDIG_COMP_CNT: 0
	.section	.text._ZN9rocsparseL12csrilu0_hashILj256ELj64ELj2EdEEviPKiS2_PT2_S2_PiS2_S5_S5_d21rocsparse_index_base_imNS_24const_host_device_scalarIfEENS7_IdEENS7_IS3_EEb,"axG",@progbits,_ZN9rocsparseL12csrilu0_hashILj256ELj64ELj2EdEEviPKiS2_PT2_S2_PiS2_S5_S5_d21rocsparse_index_base_imNS_24const_host_device_scalarIfEENS7_IdEENS7_IS3_EEb,comdat
	.globl	_ZN9rocsparseL12csrilu0_hashILj256ELj64ELj2EdEEviPKiS2_PT2_S2_PiS2_S5_S5_d21rocsparse_index_base_imNS_24const_host_device_scalarIfEENS7_IdEENS7_IS3_EEb ; -- Begin function _ZN9rocsparseL12csrilu0_hashILj256ELj64ELj2EdEEviPKiS2_PT2_S2_PiS2_S5_S5_d21rocsparse_index_base_imNS_24const_host_device_scalarIfEENS7_IdEENS7_IS3_EEb
	.p2align	8
	.type	_ZN9rocsparseL12csrilu0_hashILj256ELj64ELj2EdEEviPKiS2_PT2_S2_PiS2_S5_S5_d21rocsparse_index_base_imNS_24const_host_device_scalarIfEENS7_IdEENS7_IS3_EEb,@function
_ZN9rocsparseL12csrilu0_hashILj256ELj64ELj2EdEEviPKiS2_PT2_S2_PiS2_S5_S5_d21rocsparse_index_base_imNS_24const_host_device_scalarIfEENS7_IdEENS7_IS3_EEb: ; @_ZN9rocsparseL12csrilu0_hashILj256ELj64ELj2EdEEviPKiS2_PT2_S2_PiS2_S5_S5_d21rocsparse_index_base_imNS_24const_host_device_scalarIfEENS7_IdEENS7_IS3_EEb
; %bb.0:
	s_load_dword s0, s[4:5], 0x78
	s_load_dwordx2 s[34:35], s[4:5], 0x50
	s_load_dwordx8 s[24:31], s[4:5], 0x58
	s_waitcnt lgkmcnt(0)
	s_bitcmp1_b32 s0, 0
	s_cselect_b64 s[0:1], -1, 0
	s_cmp_eq_u32 s35, 0
	s_cselect_b64 s[8:9], -1, 0
	s_cmp_lg_u32 s35, 0
	s_cselect_b64 s[2:3], -1, 0
	s_or_b64 s[0:1], s[8:9], s[0:1]
	s_xor_b64 s[10:11], s[0:1], -1
	s_and_b64 s[12:13], s[8:9], exec
	s_cselect_b32 s13, 0, s29
	s_cselect_b32 s12, 0, s28
	s_and_b64 vcc, exec, s[0:1]
	s_cbranch_vccnz .LBB21_2
; %bb.1:
	s_load_dword s0, s[26:27], 0x0
	s_mov_b64 s[12:13], s[28:29]
	s_waitcnt lgkmcnt(0)
	v_mov_b32_e32 v19, s0
	s_branch .LBB21_3
.LBB21_2:
	v_mov_b32_e32 v1, s26
	v_cndmask_b32_e64 v19, v1, 0, s[8:9]
.LBB21_3:
	v_cndmask_b32_e64 v1, 0, 1, s[10:11]
	v_mov_b32_e32 v3, s12
	v_cmp_ne_u32_e64 s[0:1], 1, v1
	s_andn2_b64 vcc, exec, s[10:11]
	v_mov_b32_e32 v4, s13
	s_cbranch_vccnz .LBB21_5
; %bb.4:
	v_mov_b32_e32 v1, s28
	v_mov_b32_e32 v2, s29
	flat_load_dwordx2 v[3:4], v[1:2]
.LBB21_5:
	s_and_b64 s[8:9], s[8:9], exec
	s_cselect_b32 s8, 0, s30
	s_cselect_b32 s9, 0, s31
	v_mov_b32_e32 v5, s8
	s_and_b64 vcc, exec, s[0:1]
	v_mov_b32_e32 v6, s9
	s_cbranch_vccnz .LBB21_7
; %bb.6:
	v_mov_b32_e32 v1, s30
	v_mov_b32_e32 v2, s31
	flat_load_dwordx2 v[5:6], v[1:2]
.LBB21_7:
	v_and_b32_e32 v18, 63, v0
	v_lshrrev_b32_e32 v1, 6, v0
	v_lshlrev_b32_e32 v7, 9, v1
	v_lshlrev_b32_e32 v8, 2, v18
	s_movk_i32 s0, 0x800
	v_or_b32_e32 v2, 0xffffffc0, v18
	v_or3_b32 v7, v7, v8, s0
	s_mov_b64 s[0:1], 0
	v_mov_b32_e32 v8, -1
.LBB21_8:                               ; =>This Inner Loop Header: Depth=1
	v_add_co_u32_e32 v2, vcc, 64, v2
	s_xor_b64 s[8:9], vcc, -1
	s_and_b64 s[8:9], exec, s[8:9]
	ds_write_b32 v7, v8
	s_or_b64 s[0:1], s[8:9], s[0:1]
	v_add_u32_e32 v7, 0x100, v7
	s_andn2_b64 exec, exec, s[0:1]
	s_cbranch_execnz .LBB21_8
; %bb.9:
	s_or_b64 exec, exec, s[0:1]
	s_load_dword s0, s[4:5], 0x0
	s_lshl_b32 s1, s6, 2
	s_and_b32 s1, s1, 0x3fffffc
	v_or_b32_e32 v1, s1, v1
	s_waitcnt lgkmcnt(0)
	v_cmp_gt_i32_e32 vcc, s0, v1
	s_and_saveexec_b64 s[0:1], vcc
	s_cbranch_execz .LBB21_81
; %bb.10:
	s_load_dwordx16 s[8:23], s[4:5], 0x8
	v_lshlrev_b32_e32 v1, 2, v1
	v_lshlrev_b32_e32 v0, 3, v0
	v_and_b32_e32 v0, 0x600, v0
	v_or_b32_e32 v20, 0x800, v0
	s_waitcnt lgkmcnt(0)
	global_load_dword v7, v1, s[18:19]
	v_mov_b32_e32 v9, s9
	v_mov_b32_e32 v12, s15
	s_waitcnt vmcnt(0)
	v_ashrrev_i32_e32 v8, 31, v7
	v_lshlrev_b64 v[1:2], 2, v[7:8]
	v_add_co_u32_e32 v8, vcc, s8, v1
	v_addc_co_u32_e32 v9, vcc, v9, v2, vcc
	global_load_dwordx2 v[9:10], v[8:9], off
	v_add_co_u32_e32 v11, vcc, s14, v1
	v_addc_co_u32_e32 v12, vcc, v12, v2, vcc
	global_load_dword v8, v[11:12], off
	s_waitcnt vmcnt(1)
	v_subrev_u32_e32 v9, s34, v9
	v_subrev_u32_e32 v12, s34, v10
	v_add_u32_e32 v10, v9, v18
	v_cmp_lt_i32_e32 vcc, v10, v12
	s_and_saveexec_b64 s[0:1], vcc
	s_cbranch_execz .LBB21_33
; %bb.11:
	s_mov_b64 s[6:7], 0
	v_mov_b32_e32 v13, s11
	s_movk_i32 s33, 0x67
	v_mov_b32_e32 v14, -1
	s_branch .LBB21_13
.LBB21_12:                              ;   in Loop: Header=BB21_13 Depth=1
	s_or_b64 exec, exec, s[18:19]
	v_add_u32_e32 v10, 64, v10
	v_cmp_ge_i32_e32 vcc, v10, v12
	s_or_b64 s[6:7], vcc, s[6:7]
	s_andn2_b64 exec, exec, s[6:7]
	s_cbranch_execz .LBB21_33
.LBB21_13:                              ; =>This Loop Header: Depth=1
                                        ;     Child Loop BB21_22 Depth 2
	v_ashrrev_i32_e32 v11, 31, v10
	v_lshlrev_b64 v[15:16], 2, v[10:11]
	s_mov_b64 s[26:27], 0
	v_add_co_u32_e32 v15, vcc, s10, v15
	v_addc_co_u32_e32 v16, vcc, v13, v16, vcc
	global_load_dword v11, v[15:16], off
	v_mov_b32_e32 v15, 0x80
                                        ; implicit-def: $sgpr18_sgpr19
                                        ; implicit-def: $sgpr28_sgpr29
                                        ; implicit-def: $sgpr30_sgpr31
	s_waitcnt vmcnt(0)
	v_mul_lo_u32 v17, v11, s33
	s_branch .LBB21_22
.LBB21_14:                              ;   in Loop: Header=BB21_22 Depth=2
	s_or_b64 exec, exec, s[54:55]
	s_orn2_b64 s[50:51], s[50:51], exec
	s_orn2_b64 s[52:53], s[52:53], exec
.LBB21_15:                              ;   in Loop: Header=BB21_22 Depth=2
	s_or_b64 exec, exec, s[48:49]
	s_and_b64 s[50:51], s[50:51], exec
	s_orn2_b64 s[48:49], s[52:53], exec
.LBB21_16:                              ;   in Loop: Header=BB21_22 Depth=2
	s_or_b64 exec, exec, s[46:47]
	s_orn2_b64 s[50:51], s[50:51], exec
	s_orn2_b64 s[46:47], s[48:49], exec
.LBB21_17:                              ;   in Loop: Header=BB21_22 Depth=2
	s_or_b64 exec, exec, s[44:45]
	s_and_b64 s[48:49], s[50:51], exec
	s_orn2_b64 s[44:45], s[46:47], exec
.LBB21_18:                              ;   in Loop: Header=BB21_22 Depth=2
	s_or_b64 exec, exec, s[42:43]
	s_orn2_b64 s[42:43], s[48:49], exec
	s_orn2_b64 s[44:45], s[44:45], exec
.LBB21_19:                              ;   in Loop: Header=BB21_22 Depth=2
	s_or_b64 exec, exec, s[40:41]
	s_and_b64 s[42:43], s[42:43], exec
	s_orn2_b64 s[40:41], s[44:45], exec
.LBB21_20:                              ;   in Loop: Header=BB21_22 Depth=2
	s_or_b64 exec, exec, s[38:39]
	s_andn2_b64 s[30:31], s[30:31], exec
	s_and_b64 s[38:39], s[42:43], exec
	s_or_b64 s[30:31], s[30:31], s[38:39]
	s_andn2_b64 s[28:29], s[28:29], exec
	s_and_b64 s[38:39], s[40:41], exec
	s_or_b64 s[28:29], s[28:29], s[38:39]
.LBB21_21:                              ;   in Loop: Header=BB21_22 Depth=2
	s_or_b64 exec, exec, s[36:37]
	s_and_b64 s[36:37], exec, s[28:29]
	s_or_b64 s[26:27], s[36:37], s[26:27]
	s_andn2_b64 s[18:19], s[18:19], exec
	s_and_b64 s[36:37], s[30:31], exec
	s_or_b64 s[18:19], s[18:19], s[36:37]
	s_andn2_b64 exec, exec, s[26:27]
	s_cbranch_execz .LBB21_31
.LBB21_22:                              ;   Parent Loop BB21_13 Depth=1
                                        ; =>  This Inner Loop Header: Depth=2
	v_and_b32_e32 v16, 0x7f, v17
	v_lshl_add_u32 v21, v16, 2, v20
	ds_read_b32 v22, v21
	s_or_b64 s[30:31], s[30:31], exec
	s_or_b64 s[28:29], s[28:29], exec
	s_waitcnt lgkmcnt(0)
	v_cmp_ne_u32_e32 vcc, v22, v11
	s_and_saveexec_b64 s[36:37], vcc
	s_cbranch_execz .LBB21_21
; %bb.23:                               ;   in Loop: Header=BB21_22 Depth=2
	ds_cmpst_rtn_b32 v21, v21, v14, v11
	s_mov_b64 s[40:41], -1
	s_mov_b64 s[42:43], 0
	s_waitcnt lgkmcnt(0)
	v_cmp_ne_u32_e32 vcc, -1, v21
	s_and_saveexec_b64 s[38:39], vcc
	s_cbranch_execz .LBB21_20
; %bb.24:                               ;   in Loop: Header=BB21_22 Depth=2
	v_add_u32_e32 v16, 1, v17
	v_and_b32_e32 v16, 0x7f, v16
	v_lshl_add_u32 v21, v16, 2, v20
	ds_read_b32 v22, v21
	s_mov_b64 s[44:45], -1
	s_mov_b64 s[42:43], -1
	s_waitcnt lgkmcnt(0)
	v_cmp_ne_u32_e32 vcc, v22, v11
	s_and_saveexec_b64 s[40:41], vcc
	s_cbranch_execz .LBB21_19
; %bb.25:                               ;   in Loop: Header=BB21_22 Depth=2
	ds_cmpst_rtn_b32 v21, v21, v14, v11
	s_mov_b64 s[48:49], 0
	s_waitcnt lgkmcnt(0)
	v_cmp_ne_u32_e32 vcc, -1, v21
	s_and_saveexec_b64 s[42:43], vcc
	s_cbranch_execz .LBB21_18
; %bb.26:                               ;   in Loop: Header=BB21_22 Depth=2
	v_add_u32_e32 v16, 2, v17
	v_and_b32_e32 v16, 0x7f, v16
	v_lshl_add_u32 v21, v16, 2, v20
	ds_read_b32 v22, v21
	s_mov_b64 s[46:47], -1
	s_mov_b64 s[50:51], -1
	s_waitcnt lgkmcnt(0)
	v_cmp_ne_u32_e32 vcc, v22, v11
	s_and_saveexec_b64 s[44:45], vcc
	s_cbranch_execz .LBB21_17
; %bb.27:                               ;   in Loop: Header=BB21_22 Depth=2
	ds_cmpst_rtn_b32 v21, v21, v14, v11
	s_mov_b64 s[48:49], -1
	s_mov_b64 s[50:51], 0
	s_waitcnt lgkmcnt(0)
	v_cmp_ne_u32_e32 vcc, -1, v21
	s_and_saveexec_b64 s[46:47], vcc
	s_cbranch_execz .LBB21_16
; %bb.28:                               ;   in Loop: Header=BB21_22 Depth=2
	v_add_u32_e32 v16, 3, v17
	v_and_b32_e32 v16, 0x7f, v16
	v_lshl_add_u32 v21, v16, 2, v20
	ds_read_b32 v17, v21
	s_mov_b64 s[52:53], -1
	s_mov_b64 s[50:51], -1
	s_waitcnt lgkmcnt(0)
	v_cmp_ne_u32_e32 vcc, v17, v11
                                        ; implicit-def: $vgpr17
	s_and_saveexec_b64 s[48:49], vcc
	s_cbranch_execz .LBB21_15
; %bb.29:                               ;   in Loop: Header=BB21_22 Depth=2
	ds_cmpst_rtn_b32 v17, v21, v14, v11
	s_mov_b64 s[50:51], 0
	s_waitcnt lgkmcnt(0)
	v_cmp_ne_u32_e32 vcc, -1, v17
                                        ; implicit-def: $vgpr17
	s_and_saveexec_b64 s[54:55], vcc
	s_cbranch_execz .LBB21_14
; %bb.30:                               ;   in Loop: Header=BB21_22 Depth=2
	v_add_u32_e32 v15, -4, v15
	v_cmp_eq_u32_e32 vcc, 0, v15
	s_mov_b64 s[50:51], exec
	v_add_u32_e32 v17, 1, v16
	s_orn2_b64 s[52:53], vcc, exec
	s_branch .LBB21_14
.LBB21_31:                              ;   in Loop: Header=BB21_13 Depth=1
	s_or_b64 exec, exec, s[26:27]
	s_xor_b64 s[18:19], s[18:19], -1
	s_and_saveexec_b64 s[26:27], s[18:19]
	s_xor_b64 s[18:19], exec, s[26:27]
	s_cbranch_execz .LBB21_12
; %bb.32:                               ;   in Loop: Header=BB21_13 Depth=1
	v_lshl_add_u32 v11, v16, 2, v0
	ds_write_b32 v11, v10
	s_branch .LBB21_12
.LBB21_33:
	s_or_b64 exec, exec, s[0:1]
	s_waitcnt vmcnt(0)
	v_cmp_lt_i32_e32 vcc, v9, v8
	s_waitcnt lgkmcnt(0)
	s_and_saveexec_b64 s[0:1], vcc
	s_cbranch_execz .LBB21_63
; %bb.34:
	s_mov_b64 s[6:7], 0
	v_mov_b32_e32 v21, s11
	v_mov_b32_e32 v22, s13
	;; [unrolled: 1-line block ×5, first 2 shown]
	s_movk_i32 s9, 0x67
	s_branch .LBB21_37
.LBB21_35:                              ;   in Loop: Header=BB21_37 Depth=1
	s_or_b64 exec, exec, s[26:27]
	v_add_u32_e32 v9, 1, v9
	v_cmp_ge_i32_e32 vcc, v9, v8
	s_orn2_b64 s[26:27], vcc, exec
.LBB21_36:                              ;   in Loop: Header=BB21_37 Depth=1
	s_or_b64 exec, exec, s[18:19]
	s_and_b64 s[18:19], exec, s[26:27]
	s_or_b64 s[6:7], s[18:19], s[6:7]
	s_andn2_b64 exec, exec, s[6:7]
	s_cbranch_execz .LBB21_63
.LBB21_37:                              ; =>This Loop Header: Depth=1
                                        ;     Child Loop BB21_38 Depth 2
                                        ;     Child Loop BB21_43 Depth 2
                                        ;       Child Loop BB21_52 Depth 3
	v_ashrrev_i32_e32 v10, 31, v9
	v_lshlrev_b64 v[11:12], 2, v[9:10]
	s_mov_b64 s[18:19], 0
	v_add_co_u32_e32 v11, vcc, s10, v11
	v_addc_co_u32_e32 v12, vcc, v21, v12, vcc
	global_load_dword v12, v[11:12], off
	v_lshlrev_b64 v[10:11], 3, v[9:10]
	v_add_co_u32_e32 v13, vcc, s12, v10
	v_addc_co_u32_e32 v14, vcc, v22, v11, vcc
	global_load_dwordx2 v[10:11], v[13:14], off
	s_waitcnt vmcnt(1)
	v_subrev_u32_e32 v15, s34, v12
	v_ashrrev_i32_e32 v16, 31, v15
	v_lshlrev_b64 v[15:16], 2, v[15:16]
	v_add_co_u32_e32 v26, vcc, s8, v15
	v_addc_co_u32_e32 v27, vcc, v23, v16, vcc
	v_add_co_u32_e32 v28, vcc, s14, v15
	v_addc_co_u32_e32 v29, vcc, v24, v16, vcc
	global_load_dword v12, v[26:27], off offset:4
	global_load_dword v17, v[28:29], off
	v_add_co_u32_e32 v15, vcc, s16, v15
	v_addc_co_u32_e32 v16, vcc, v25, v16, vcc
.LBB21_38:                              ;   Parent Loop BB21_37 Depth=1
                                        ; =>  This Inner Loop Header: Depth=2
	global_load_dword v26, v[15:16], off glc
	s_waitcnt vmcnt(0)
	v_cmp_ne_u32_e32 vcc, 0, v26
	s_or_b64 s[18:19], vcc, s[18:19]
	s_andn2_b64 exec, exec, s[18:19]
	s_cbranch_execnz .LBB21_38
; %bb.39:                               ;   in Loop: Header=BB21_37 Depth=1
	s_or_b64 exec, exec, s[18:19]
	v_subrev_u32_e32 v26, s34, v12
	v_add_u32_e32 v12, -1, v26
	v_cmp_eq_u32_e32 vcc, -1, v17
	v_cndmask_b32_e32 v15, v17, v12, vcc
	v_ashrrev_i32_e32 v16, 31, v15
	v_lshlrev_b64 v[16:17], 3, v[15:16]
	buffer_wbinvl1_vol
	v_add_co_u32_e32 v16, vcc, s12, v16
	v_addc_co_u32_e32 v17, vcc, v22, v17, vcc
	global_load_dwordx2 v[16:17], v[16:17], off
	s_mov_b64 s[26:27], -1
	s_waitcnt vmcnt(0)
	v_cmp_neq_f64_e32 vcc, 0, v[16:17]
	s_and_saveexec_b64 s[18:19], vcc
	s_cbranch_execz .LBB21_36
; %bb.40:                               ;   in Loop: Header=BB21_37 Depth=1
	v_div_scale_f64 v[27:28], s[26:27], v[16:17], v[16:17], v[10:11]
	v_add_u32_e32 v12, 1, v18
	v_add_u32_e32 v12, v12, v15
	v_rcp_f64_e32 v[29:30], v[27:28]
	v_fma_f64 v[31:32], -v[27:28], v[29:30], 1.0
	v_fma_f64 v[29:30], v[29:30], v[31:32], v[29:30]
	v_div_scale_f64 v[31:32], vcc, v[10:11], v[16:17], v[10:11]
	v_fma_f64 v[33:34], -v[27:28], v[29:30], 1.0
	v_fma_f64 v[29:30], v[29:30], v[33:34], v[29:30]
	v_mul_f64 v[33:34], v[31:32], v[29:30]
	v_fma_f64 v[27:28], -v[27:28], v[33:34], v[31:32]
	v_div_fmas_f64 v[27:28], v[27:28], v[29:30], v[33:34]
	v_cmp_lt_i32_e32 vcc, v12, v26
	v_div_fixup_f64 v[10:11], v[27:28], v[16:17], v[10:11]
	global_store_dwordx2 v[13:14], v[10:11], off
	s_and_saveexec_b64 s[26:27], vcc
	s_cbranch_execz .LBB21_35
; %bb.41:                               ;   in Loop: Header=BB21_37 Depth=1
	s_mov_b64 s[28:29], 0
	s_branch .LBB21_43
.LBB21_42:                              ;   in Loop: Header=BB21_43 Depth=2
	s_or_b64 exec, exec, s[30:31]
	v_add_u32_e32 v12, 64, v12
	v_cmp_ge_i32_e32 vcc, v12, v26
	s_or_b64 s[28:29], vcc, s[28:29]
	s_andn2_b64 exec, exec, s[28:29]
	s_cbranch_execz .LBB21_35
.LBB21_43:                              ;   Parent Loop BB21_37 Depth=1
                                        ; =>  This Loop Header: Depth=2
                                        ;       Child Loop BB21_52 Depth 3
	v_ashrrev_i32_e32 v13, 31, v12
	v_lshlrev_b64 v[14:15], 2, v[12:13]
	s_mov_b64 s[36:37], 0
	v_add_co_u32_e32 v14, vcc, s10, v14
	v_addc_co_u32_e32 v15, vcc, v21, v15, vcc
	global_load_dword v14, v[14:15], off
	v_mov_b32_e32 v15, 0x80
                                        ; implicit-def: $sgpr30_sgpr31
                                        ; implicit-def: $sgpr38_sgpr39
                                        ; implicit-def: $sgpr40_sgpr41
	s_waitcnt vmcnt(0)
	v_mul_lo_u32 v17, v14, s9
	s_branch .LBB21_52
.LBB21_44:                              ;   in Loop: Header=BB21_52 Depth=3
	s_or_b64 exec, exec, s[60:61]
	s_orn2_b64 s[56:57], s[56:57], exec
	s_orn2_b64 s[58:59], s[58:59], exec
.LBB21_45:                              ;   in Loop: Header=BB21_52 Depth=3
	s_or_b64 exec, exec, s[54:55]
	s_and_b64 s[56:57], s[56:57], exec
	s_orn2_b64 s[54:55], s[58:59], exec
.LBB21_46:                              ;   in Loop: Header=BB21_52 Depth=3
	s_or_b64 exec, exec, s[52:53]
	s_orn2_b64 s[56:57], s[56:57], exec
	s_orn2_b64 s[52:53], s[54:55], exec
.LBB21_47:                              ;   in Loop: Header=BB21_52 Depth=3
	s_or_b64 exec, exec, s[50:51]
	s_and_b64 s[54:55], s[56:57], exec
	s_orn2_b64 s[50:51], s[52:53], exec
.LBB21_48:                              ;   in Loop: Header=BB21_52 Depth=3
	s_or_b64 exec, exec, s[48:49]
	s_orn2_b64 s[48:49], s[54:55], exec
	s_orn2_b64 s[50:51], s[50:51], exec
.LBB21_49:                              ;   in Loop: Header=BB21_52 Depth=3
	s_or_b64 exec, exec, s[46:47]
	s_and_b64 s[48:49], s[48:49], exec
	s_orn2_b64 s[46:47], s[50:51], exec
.LBB21_50:                              ;   in Loop: Header=BB21_52 Depth=3
	s_or_b64 exec, exec, s[44:45]
	s_andn2_b64 s[40:41], s[40:41], exec
	s_and_b64 s[44:45], s[48:49], exec
	s_or_b64 s[40:41], s[40:41], s[44:45]
	s_andn2_b64 s[38:39], s[38:39], exec
	s_and_b64 s[44:45], s[46:47], exec
	s_or_b64 s[38:39], s[38:39], s[44:45]
.LBB21_51:                              ;   in Loop: Header=BB21_52 Depth=3
	s_or_b64 exec, exec, s[42:43]
	s_and_b64 s[42:43], exec, s[38:39]
	s_or_b64 s[36:37], s[42:43], s[36:37]
	s_andn2_b64 s[30:31], s[30:31], exec
	s_and_b64 s[42:43], s[40:41], exec
	s_or_b64 s[30:31], s[30:31], s[42:43]
	s_andn2_b64 exec, exec, s[36:37]
	s_cbranch_execz .LBB21_61
.LBB21_52:                              ;   Parent Loop BB21_37 Depth=1
                                        ;     Parent Loop BB21_43 Depth=2
                                        ; =>    This Inner Loop Header: Depth=3
	v_and_b32_e32 v16, 0x7f, v17
	v_lshl_add_u32 v27, v16, 2, v20
	ds_read_b32 v27, v27
	s_or_b64 s[40:41], s[40:41], exec
	s_or_b64 s[38:39], s[38:39], exec
	s_waitcnt lgkmcnt(0)
	v_cmp_ne_u32_e32 vcc, -1, v27
	s_and_saveexec_b64 s[42:43], vcc
	s_cbranch_execz .LBB21_51
; %bb.53:                               ;   in Loop: Header=BB21_52 Depth=3
	v_cmp_ne_u32_e32 vcc, v27, v14
	s_mov_b64 s[46:47], -1
	s_mov_b64 s[48:49], 0
	s_and_saveexec_b64 s[44:45], vcc
	s_cbranch_execz .LBB21_50
; %bb.54:                               ;   in Loop: Header=BB21_52 Depth=3
	v_add_u32_e32 v16, 1, v17
	v_and_b32_e32 v16, 0x7f, v16
	v_lshl_add_u32 v27, v16, 2, v20
	ds_read_b32 v27, v27
	s_mov_b64 s[50:51], -1
	s_mov_b64 s[48:49], -1
	s_waitcnt lgkmcnt(0)
	v_cmp_ne_u32_e32 vcc, -1, v27
	s_and_saveexec_b64 s[46:47], vcc
	s_cbranch_execz .LBB21_49
; %bb.55:                               ;   in Loop: Header=BB21_52 Depth=3
	v_cmp_ne_u32_e32 vcc, v27, v14
	s_mov_b64 s[54:55], 0
	s_and_saveexec_b64 s[48:49], vcc
	s_cbranch_execz .LBB21_48
; %bb.56:                               ;   in Loop: Header=BB21_52 Depth=3
	v_add_u32_e32 v16, 2, v17
	v_and_b32_e32 v16, 0x7f, v16
	v_lshl_add_u32 v27, v16, 2, v20
	ds_read_b32 v27, v27
	s_mov_b64 s[52:53], -1
	s_mov_b64 s[56:57], -1
	s_waitcnt lgkmcnt(0)
	v_cmp_ne_u32_e32 vcc, -1, v27
	s_and_saveexec_b64 s[50:51], vcc
	s_cbranch_execz .LBB21_47
; %bb.57:                               ;   in Loop: Header=BB21_52 Depth=3
	v_cmp_ne_u32_e32 vcc, v27, v14
	s_mov_b64 s[54:55], -1
	s_mov_b64 s[56:57], 0
	s_and_saveexec_b64 s[52:53], vcc
	s_cbranch_execz .LBB21_46
; %bb.58:                               ;   in Loop: Header=BB21_52 Depth=3
	v_add_u32_e32 v16, 3, v17
	v_and_b32_e32 v16, 0x7f, v16
	v_lshl_add_u32 v17, v16, 2, v20
	ds_read_b32 v27, v17
	s_mov_b64 s[58:59], -1
	s_mov_b64 s[56:57], -1
                                        ; implicit-def: $vgpr17
	s_waitcnt lgkmcnt(0)
	v_cmp_ne_u32_e32 vcc, -1, v27
	s_and_saveexec_b64 s[54:55], vcc
	s_cbranch_execz .LBB21_45
; %bb.59:                               ;   in Loop: Header=BB21_52 Depth=3
	v_cmp_ne_u32_e32 vcc, v27, v14
	s_mov_b64 s[56:57], 0
                                        ; implicit-def: $vgpr17
	s_and_saveexec_b64 s[60:61], vcc
	s_cbranch_execz .LBB21_44
; %bb.60:                               ;   in Loop: Header=BB21_52 Depth=3
	v_add_u32_e32 v15, -4, v15
	v_cmp_eq_u32_e32 vcc, 0, v15
	s_mov_b64 s[56:57], exec
	v_add_u32_e32 v17, 1, v16
	s_orn2_b64 s[58:59], vcc, exec
	s_branch .LBB21_44
.LBB21_61:                              ;   in Loop: Header=BB21_43 Depth=2
	s_or_b64 exec, exec, s[36:37]
	s_xor_b64 s[30:31], s[30:31], -1
	s_and_saveexec_b64 s[36:37], s[30:31]
	s_xor_b64 s[30:31], exec, s[36:37]
	s_cbranch_execz .LBB21_42
; %bb.62:                               ;   in Loop: Header=BB21_43 Depth=2
	v_lshl_add_u32 v14, v16, 2, v0
	ds_read_b32 v14, v14
	v_lshlrev_b64 v[16:17], 3, v[12:13]
	v_mov_b32_e32 v27, s13
	v_add_co_u32_e32 v16, vcc, s12, v16
	s_waitcnt lgkmcnt(0)
	v_ashrrev_i32_e32 v15, 31, v14
	v_lshlrev_b64 v[13:14], 3, v[14:15]
	v_addc_co_u32_e32 v17, vcc, v27, v17, vcc
	v_add_co_u32_e32 v13, vcc, s12, v13
	v_addc_co_u32_e32 v14, vcc, v27, v14, vcc
	global_load_dwordx2 v[27:28], v[16:17], off
	global_load_dwordx2 v[29:30], v[13:14], off
	s_waitcnt vmcnt(0)
	v_fma_f64 v[15:16], -v[10:11], v[27:28], v[29:30]
	global_store_dwordx2 v[13:14], v[15:16], off
	s_branch .LBB21_42
.LBB21_63:
	s_or_b64 exec, exec, s[0:1]
	v_cmp_lt_i32_e32 vcc, -1, v8
	s_and_saveexec_b64 s[6:7], vcc
	s_cbranch_execz .LBB21_79
; %bb.64:
	v_mov_b32_e32 v9, 0
	v_lshlrev_b64 v[8:9], 3, v[8:9]
	v_mov_b32_e32 v0, s13
	v_add_co_u32_e32 v10, vcc, s12, v8
	v_addc_co_u32_e32 v11, vcc, v0, v9, vcc
	global_load_dwordx2 v[8:9], v[10:11], off
	s_andn2_b64 vcc, exec, s[2:3]
	v_cmp_eq_u32_e64 s[0:1], 0, v18
	s_waitcnt vmcnt(0)
	v_cmp_gt_f64_e64 s[2:3], 0, v[8:9]
	v_xor_b32_e32 v0, 0x80000000, v9
	v_mov_b32_e32 v12, v8
	v_cndmask_b32_e64 v13, v9, v0, s[2:3]
	s_mov_b64 s[2:3], -1
	s_cbranch_vccnz .LBB21_68
; %bb.65:
	v_cvt_f64_f32_e32 v[14:15], v19
	s_cmp_eq_u64 s[24:25], 8
	s_cselect_b64 vcc, -1, 0
	v_cndmask_b32_e32 v4, v15, v4, vcc
	v_cndmask_b32_e32 v3, v14, v3, vcc
	v_cmp_le_f64_e32 vcc, v[12:13], v[3:4]
	s_and_b64 s[8:9], s[0:1], vcc
	s_and_saveexec_b64 s[2:3], s[8:9]
	s_cbranch_execz .LBB21_67
; %bb.66:
	global_store_dwordx2 v[10:11], v[5:6], off
	s_waitcnt vmcnt(0)
	buffer_wbinvl1_vol
.LBB21_67:
	s_or_b64 exec, exec, s[2:3]
	s_mov_b64 s[2:3], 0
.LBB21_68:
	s_andn2_b64 vcc, exec, s[2:3]
	s_cbranch_vccnz .LBB21_79
; %bb.69:
	s_load_dwordx2 s[2:3], s[4:5], 0x48
	v_add_u32_e32 v0, s34, v7
	s_waitcnt lgkmcnt(0)
	v_cmp_ge_f64_e32 vcc, s[2:3], v[12:13]
	s_and_b64 s[4:5], s[0:1], vcc
	s_and_saveexec_b64 s[2:3], s[4:5]
	s_cbranch_execz .LBB21_74
; %bb.70:
	s_mov_b64 s[4:5], exec
	s_brev_b32 s8, -2
.LBB21_71:                              ; =>This Inner Loop Header: Depth=1
	s_ff1_i32_b64 s9, s[4:5]
	v_readlane_b32 s12, v0, s9
	s_lshl_b64 s[10:11], 1, s9
	s_min_i32 s8, s8, s12
	s_andn2_b64 s[4:5], s[4:5], s[10:11]
	s_cmp_lg_u64 s[4:5], 0
	s_cbranch_scc1 .LBB21_71
; %bb.72:
	v_mbcnt_lo_u32_b32 v3, exec_lo, 0
	v_mbcnt_hi_u32_b32 v3, exec_hi, v3
	v_cmp_eq_u32_e32 vcc, 0, v3
	s_and_saveexec_b64 s[4:5], vcc
	s_xor_b64 s[4:5], exec, s[4:5]
	s_cbranch_execz .LBB21_74
; %bb.73:
	v_mov_b32_e32 v3, 0
	v_mov_b32_e32 v4, s8
	global_atomic_smin v3, v4, s[22:23]
.LBB21_74:
	s_or_b64 exec, exec, s[2:3]
	v_cmp_eq_f64_e32 vcc, 0, v[8:9]
	s_and_b64 s[0:1], s[0:1], vcc
	s_and_b64 exec, exec, s[0:1]
	s_cbranch_execz .LBB21_79
; %bb.75:
	s_mov_b64 s[0:1], exec
	s_brev_b32 s2, -2
.LBB21_76:                              ; =>This Inner Loop Header: Depth=1
	s_ff1_i32_b64 s3, s[0:1]
	v_readlane_b32 s8, v0, s3
	s_lshl_b64 s[4:5], 1, s3
	s_min_i32 s2, s2, s8
	s_andn2_b64 s[0:1], s[0:1], s[4:5]
	s_cmp_lg_u64 s[0:1], 0
	s_cbranch_scc1 .LBB21_76
; %bb.77:
	v_mbcnt_lo_u32_b32 v0, exec_lo, 0
	v_mbcnt_hi_u32_b32 v0, exec_hi, v0
	v_cmp_eq_u32_e32 vcc, 0, v0
	s_and_saveexec_b64 s[0:1], vcc
	s_xor_b64 s[0:1], exec, s[0:1]
	s_cbranch_execz .LBB21_79
; %bb.78:
	v_mov_b32_e32 v0, 0
	v_mov_b32_e32 v3, s2
	global_atomic_smin v0, v3, s[20:21]
.LBB21_79:
	s_or_b64 exec, exec, s[6:7]
	v_cmp_eq_u32_e32 vcc, 0, v18
	s_waitcnt vmcnt(0)
	buffer_wbinvl1_vol
	s_and_b64 exec, exec, vcc
	s_cbranch_execz .LBB21_81
; %bb.80:
	v_mov_b32_e32 v3, s17
	v_add_co_u32_e32 v0, vcc, s16, v1
	v_addc_co_u32_e32 v1, vcc, v3, v2, vcc
	v_mov_b32_e32 v2, 1
	global_store_dword v[0:1], v2, off
.LBB21_81:
	s_endpgm
	.section	.rodata,"a",@progbits
	.p2align	6, 0x0
	.amdhsa_kernel _ZN9rocsparseL12csrilu0_hashILj256ELj64ELj2EdEEviPKiS2_PT2_S2_PiS2_S5_S5_d21rocsparse_index_base_imNS_24const_host_device_scalarIfEENS7_IdEENS7_IS3_EEb
		.amdhsa_group_segment_fixed_size 4096
		.amdhsa_private_segment_fixed_size 0
		.amdhsa_kernarg_size 124
		.amdhsa_user_sgpr_count 6
		.amdhsa_user_sgpr_private_segment_buffer 1
		.amdhsa_user_sgpr_dispatch_ptr 0
		.amdhsa_user_sgpr_queue_ptr 0
		.amdhsa_user_sgpr_kernarg_segment_ptr 1
		.amdhsa_user_sgpr_dispatch_id 0
		.amdhsa_user_sgpr_flat_scratch_init 0
		.amdhsa_user_sgpr_private_segment_size 0
		.amdhsa_uses_dynamic_stack 0
		.amdhsa_system_sgpr_private_segment_wavefront_offset 0
		.amdhsa_system_sgpr_workgroup_id_x 1
		.amdhsa_system_sgpr_workgroup_id_y 0
		.amdhsa_system_sgpr_workgroup_id_z 0
		.amdhsa_system_sgpr_workgroup_info 0
		.amdhsa_system_vgpr_workitem_id 0
		.amdhsa_next_free_vgpr 35
		.amdhsa_next_free_sgpr 62
		.amdhsa_reserve_vcc 1
		.amdhsa_reserve_flat_scratch 0
		.amdhsa_float_round_mode_32 0
		.amdhsa_float_round_mode_16_64 0
		.amdhsa_float_denorm_mode_32 3
		.amdhsa_float_denorm_mode_16_64 3
		.amdhsa_dx10_clamp 1
		.amdhsa_ieee_mode 1
		.amdhsa_fp16_overflow 0
		.amdhsa_exception_fp_ieee_invalid_op 0
		.amdhsa_exception_fp_denorm_src 0
		.amdhsa_exception_fp_ieee_div_zero 0
		.amdhsa_exception_fp_ieee_overflow 0
		.amdhsa_exception_fp_ieee_underflow 0
		.amdhsa_exception_fp_ieee_inexact 0
		.amdhsa_exception_int_div_zero 0
	.end_amdhsa_kernel
	.section	.text._ZN9rocsparseL12csrilu0_hashILj256ELj64ELj2EdEEviPKiS2_PT2_S2_PiS2_S5_S5_d21rocsparse_index_base_imNS_24const_host_device_scalarIfEENS7_IdEENS7_IS3_EEb,"axG",@progbits,_ZN9rocsparseL12csrilu0_hashILj256ELj64ELj2EdEEviPKiS2_PT2_S2_PiS2_S5_S5_d21rocsparse_index_base_imNS_24const_host_device_scalarIfEENS7_IdEENS7_IS3_EEb,comdat
.Lfunc_end21:
	.size	_ZN9rocsparseL12csrilu0_hashILj256ELj64ELj2EdEEviPKiS2_PT2_S2_PiS2_S5_S5_d21rocsparse_index_base_imNS_24const_host_device_scalarIfEENS7_IdEENS7_IS3_EEb, .Lfunc_end21-_ZN9rocsparseL12csrilu0_hashILj256ELj64ELj2EdEEviPKiS2_PT2_S2_PiS2_S5_S5_d21rocsparse_index_base_imNS_24const_host_device_scalarIfEENS7_IdEENS7_IS3_EEb
                                        ; -- End function
	.set _ZN9rocsparseL12csrilu0_hashILj256ELj64ELj2EdEEviPKiS2_PT2_S2_PiS2_S5_S5_d21rocsparse_index_base_imNS_24const_host_device_scalarIfEENS7_IdEENS7_IS3_EEb.num_vgpr, 35
	.set _ZN9rocsparseL12csrilu0_hashILj256ELj64ELj2EdEEviPKiS2_PT2_S2_PiS2_S5_S5_d21rocsparse_index_base_imNS_24const_host_device_scalarIfEENS7_IdEENS7_IS3_EEb.num_agpr, 0
	.set _ZN9rocsparseL12csrilu0_hashILj256ELj64ELj2EdEEviPKiS2_PT2_S2_PiS2_S5_S5_d21rocsparse_index_base_imNS_24const_host_device_scalarIfEENS7_IdEENS7_IS3_EEb.numbered_sgpr, 62
	.set _ZN9rocsparseL12csrilu0_hashILj256ELj64ELj2EdEEviPKiS2_PT2_S2_PiS2_S5_S5_d21rocsparse_index_base_imNS_24const_host_device_scalarIfEENS7_IdEENS7_IS3_EEb.num_named_barrier, 0
	.set _ZN9rocsparseL12csrilu0_hashILj256ELj64ELj2EdEEviPKiS2_PT2_S2_PiS2_S5_S5_d21rocsparse_index_base_imNS_24const_host_device_scalarIfEENS7_IdEENS7_IS3_EEb.private_seg_size, 0
	.set _ZN9rocsparseL12csrilu0_hashILj256ELj64ELj2EdEEviPKiS2_PT2_S2_PiS2_S5_S5_d21rocsparse_index_base_imNS_24const_host_device_scalarIfEENS7_IdEENS7_IS3_EEb.uses_vcc, 1
	.set _ZN9rocsparseL12csrilu0_hashILj256ELj64ELj2EdEEviPKiS2_PT2_S2_PiS2_S5_S5_d21rocsparse_index_base_imNS_24const_host_device_scalarIfEENS7_IdEENS7_IS3_EEb.uses_flat_scratch, 0
	.set _ZN9rocsparseL12csrilu0_hashILj256ELj64ELj2EdEEviPKiS2_PT2_S2_PiS2_S5_S5_d21rocsparse_index_base_imNS_24const_host_device_scalarIfEENS7_IdEENS7_IS3_EEb.has_dyn_sized_stack, 0
	.set _ZN9rocsparseL12csrilu0_hashILj256ELj64ELj2EdEEviPKiS2_PT2_S2_PiS2_S5_S5_d21rocsparse_index_base_imNS_24const_host_device_scalarIfEENS7_IdEENS7_IS3_EEb.has_recursion, 0
	.set _ZN9rocsparseL12csrilu0_hashILj256ELj64ELj2EdEEviPKiS2_PT2_S2_PiS2_S5_S5_d21rocsparse_index_base_imNS_24const_host_device_scalarIfEENS7_IdEENS7_IS3_EEb.has_indirect_call, 0
	.section	.AMDGPU.csdata,"",@progbits
; Kernel info:
; codeLenInByte = 2604
; TotalNumSgprs: 66
; NumVgprs: 35
; ScratchSize: 0
; MemoryBound: 0
; FloatMode: 240
; IeeeMode: 1
; LDSByteSize: 4096 bytes/workgroup (compile time only)
; SGPRBlocks: 8
; VGPRBlocks: 8
; NumSGPRsForWavesPerEU: 66
; NumVGPRsForWavesPerEU: 35
; Occupancy: 7
; WaveLimiterHint : 1
; COMPUTE_PGM_RSRC2:SCRATCH_EN: 0
; COMPUTE_PGM_RSRC2:USER_SGPR: 6
; COMPUTE_PGM_RSRC2:TRAP_HANDLER: 0
; COMPUTE_PGM_RSRC2:TGID_X_EN: 1
; COMPUTE_PGM_RSRC2:TGID_Y_EN: 0
; COMPUTE_PGM_RSRC2:TGID_Z_EN: 0
; COMPUTE_PGM_RSRC2:TIDIG_COMP_CNT: 0
	.section	.text._ZN9rocsparseL12csrilu0_hashILj256ELj64ELj4EdEEviPKiS2_PT2_S2_PiS2_S5_S5_d21rocsparse_index_base_imNS_24const_host_device_scalarIfEENS7_IdEENS7_IS3_EEb,"axG",@progbits,_ZN9rocsparseL12csrilu0_hashILj256ELj64ELj4EdEEviPKiS2_PT2_S2_PiS2_S5_S5_d21rocsparse_index_base_imNS_24const_host_device_scalarIfEENS7_IdEENS7_IS3_EEb,comdat
	.globl	_ZN9rocsparseL12csrilu0_hashILj256ELj64ELj4EdEEviPKiS2_PT2_S2_PiS2_S5_S5_d21rocsparse_index_base_imNS_24const_host_device_scalarIfEENS7_IdEENS7_IS3_EEb ; -- Begin function _ZN9rocsparseL12csrilu0_hashILj256ELj64ELj4EdEEviPKiS2_PT2_S2_PiS2_S5_S5_d21rocsparse_index_base_imNS_24const_host_device_scalarIfEENS7_IdEENS7_IS3_EEb
	.p2align	8
	.type	_ZN9rocsparseL12csrilu0_hashILj256ELj64ELj4EdEEviPKiS2_PT2_S2_PiS2_S5_S5_d21rocsparse_index_base_imNS_24const_host_device_scalarIfEENS7_IdEENS7_IS3_EEb,@function
_ZN9rocsparseL12csrilu0_hashILj256ELj64ELj4EdEEviPKiS2_PT2_S2_PiS2_S5_S5_d21rocsparse_index_base_imNS_24const_host_device_scalarIfEENS7_IdEENS7_IS3_EEb: ; @_ZN9rocsparseL12csrilu0_hashILj256ELj64ELj4EdEEviPKiS2_PT2_S2_PiS2_S5_S5_d21rocsparse_index_base_imNS_24const_host_device_scalarIfEENS7_IdEENS7_IS3_EEb
; %bb.0:
	s_load_dword s0, s[4:5], 0x78
	s_load_dwordx2 s[34:35], s[4:5], 0x50
	s_load_dwordx8 s[24:31], s[4:5], 0x58
	s_waitcnt lgkmcnt(0)
	s_bitcmp1_b32 s0, 0
	s_cselect_b64 s[0:1], -1, 0
	s_cmp_eq_u32 s35, 0
	s_cselect_b64 s[8:9], -1, 0
	s_cmp_lg_u32 s35, 0
	s_cselect_b64 s[2:3], -1, 0
	s_or_b64 s[0:1], s[8:9], s[0:1]
	s_xor_b64 s[10:11], s[0:1], -1
	s_and_b64 s[12:13], s[8:9], exec
	s_cselect_b32 s13, 0, s29
	s_cselect_b32 s12, 0, s28
	s_and_b64 vcc, exec, s[0:1]
	s_cbranch_vccnz .LBB22_2
; %bb.1:
	s_load_dword s0, s[26:27], 0x0
	s_mov_b64 s[12:13], s[28:29]
	s_waitcnt lgkmcnt(0)
	v_mov_b32_e32 v19, s0
	s_branch .LBB22_3
.LBB22_2:
	v_mov_b32_e32 v1, s26
	v_cndmask_b32_e64 v19, v1, 0, s[8:9]
.LBB22_3:
	v_cndmask_b32_e64 v1, 0, 1, s[10:11]
	v_mov_b32_e32 v3, s12
	v_cmp_ne_u32_e64 s[0:1], 1, v1
	s_andn2_b64 vcc, exec, s[10:11]
	v_mov_b32_e32 v4, s13
	s_cbranch_vccnz .LBB22_5
; %bb.4:
	v_mov_b32_e32 v1, s28
	v_mov_b32_e32 v2, s29
	flat_load_dwordx2 v[3:4], v[1:2]
.LBB22_5:
	s_and_b64 s[8:9], s[8:9], exec
	s_cselect_b32 s8, 0, s30
	s_cselect_b32 s9, 0, s31
	v_mov_b32_e32 v5, s8
	s_and_b64 vcc, exec, s[0:1]
	v_mov_b32_e32 v6, s9
	s_cbranch_vccnz .LBB22_7
; %bb.6:
	v_mov_b32_e32 v1, s30
	v_mov_b32_e32 v2, s31
	flat_load_dwordx2 v[5:6], v[1:2]
.LBB22_7:
	v_and_b32_e32 v18, 63, v0
	v_lshrrev_b32_e32 v1, 6, v0
	v_lshlrev_b32_e32 v7, 10, v1
	v_lshlrev_b32_e32 v8, 2, v18
	s_movk_i32 s0, 0x1000
	v_or_b32_e32 v2, 0xffffffc0, v18
	v_or3_b32 v7, v7, v8, s0
	s_mov_b64 s[0:1], 0
	v_mov_b32_e32 v8, -1
	s_movk_i32 s7, 0xbf
.LBB22_8:                               ; =>This Inner Loop Header: Depth=1
	v_add_u32_e32 v2, 64, v2
	v_cmp_lt_u32_e32 vcc, s7, v2
	ds_write_b32 v7, v8
	s_or_b64 s[0:1], vcc, s[0:1]
	v_add_u32_e32 v7, 0x100, v7
	s_andn2_b64 exec, exec, s[0:1]
	s_cbranch_execnz .LBB22_8
; %bb.9:
	s_or_b64 exec, exec, s[0:1]
	s_load_dword s0, s[4:5], 0x0
	s_lshl_b32 s1, s6, 2
	s_and_b32 s1, s1, 0x3fffffc
	v_or_b32_e32 v1, s1, v1
	s_waitcnt lgkmcnt(0)
	v_cmp_gt_i32_e32 vcc, s0, v1
	s_and_saveexec_b64 s[0:1], vcc
	s_cbranch_execz .LBB22_81
; %bb.10:
	s_load_dwordx16 s[8:23], s[4:5], 0x8
	v_lshlrev_b32_e32 v1, 2, v1
	v_lshlrev_b32_e32 v0, 4, v0
	v_and_b32_e32 v0, 0xc00, v0
	v_or_b32_e32 v20, 0x1000, v0
	s_waitcnt lgkmcnt(0)
	global_load_dword v7, v1, s[18:19]
	v_mov_b32_e32 v9, s9
	v_mov_b32_e32 v12, s15
	s_waitcnt vmcnt(0)
	v_ashrrev_i32_e32 v8, 31, v7
	v_lshlrev_b64 v[1:2], 2, v[7:8]
	v_add_co_u32_e32 v8, vcc, s8, v1
	v_addc_co_u32_e32 v9, vcc, v9, v2, vcc
	global_load_dwordx2 v[9:10], v[8:9], off
	v_add_co_u32_e32 v11, vcc, s14, v1
	v_addc_co_u32_e32 v12, vcc, v12, v2, vcc
	global_load_dword v8, v[11:12], off
	s_waitcnt vmcnt(1)
	v_subrev_u32_e32 v9, s34, v9
	v_subrev_u32_e32 v12, s34, v10
	v_add_u32_e32 v10, v9, v18
	v_cmp_lt_i32_e32 vcc, v10, v12
	s_and_saveexec_b64 s[0:1], vcc
	s_cbranch_execz .LBB22_33
; %bb.11:
	s_mov_b64 s[6:7], 0
	v_mov_b32_e32 v13, s11
	s_movk_i32 s33, 0x67
	v_mov_b32_e32 v14, -1
	s_branch .LBB22_13
.LBB22_12:                              ;   in Loop: Header=BB22_13 Depth=1
	s_or_b64 exec, exec, s[18:19]
	v_add_u32_e32 v10, 64, v10
	v_cmp_ge_i32_e32 vcc, v10, v12
	s_or_b64 s[6:7], vcc, s[6:7]
	s_andn2_b64 exec, exec, s[6:7]
	s_cbranch_execz .LBB22_33
.LBB22_13:                              ; =>This Loop Header: Depth=1
                                        ;     Child Loop BB22_22 Depth 2
	v_ashrrev_i32_e32 v11, 31, v10
	v_lshlrev_b64 v[15:16], 2, v[10:11]
	s_mov_b64 s[26:27], 0
	v_add_co_u32_e32 v15, vcc, s10, v15
	v_addc_co_u32_e32 v16, vcc, v13, v16, vcc
	global_load_dword v11, v[15:16], off
	v_mov_b32_e32 v15, 0x100
                                        ; implicit-def: $sgpr18_sgpr19
                                        ; implicit-def: $sgpr28_sgpr29
                                        ; implicit-def: $sgpr30_sgpr31
	s_waitcnt vmcnt(0)
	v_mul_lo_u32 v17, v11, s33
	s_branch .LBB22_22
.LBB22_14:                              ;   in Loop: Header=BB22_22 Depth=2
	s_or_b64 exec, exec, s[54:55]
	s_orn2_b64 s[50:51], s[50:51], exec
	s_orn2_b64 s[52:53], s[52:53], exec
.LBB22_15:                              ;   in Loop: Header=BB22_22 Depth=2
	s_or_b64 exec, exec, s[48:49]
	s_and_b64 s[50:51], s[50:51], exec
	s_orn2_b64 s[48:49], s[52:53], exec
.LBB22_16:                              ;   in Loop: Header=BB22_22 Depth=2
	s_or_b64 exec, exec, s[46:47]
	s_orn2_b64 s[50:51], s[50:51], exec
	s_orn2_b64 s[46:47], s[48:49], exec
.LBB22_17:                              ;   in Loop: Header=BB22_22 Depth=2
	s_or_b64 exec, exec, s[44:45]
	s_and_b64 s[48:49], s[50:51], exec
	s_orn2_b64 s[44:45], s[46:47], exec
.LBB22_18:                              ;   in Loop: Header=BB22_22 Depth=2
	s_or_b64 exec, exec, s[42:43]
	s_orn2_b64 s[42:43], s[48:49], exec
	s_orn2_b64 s[44:45], s[44:45], exec
.LBB22_19:                              ;   in Loop: Header=BB22_22 Depth=2
	s_or_b64 exec, exec, s[40:41]
	s_and_b64 s[42:43], s[42:43], exec
	s_orn2_b64 s[40:41], s[44:45], exec
.LBB22_20:                              ;   in Loop: Header=BB22_22 Depth=2
	s_or_b64 exec, exec, s[38:39]
	s_andn2_b64 s[30:31], s[30:31], exec
	s_and_b64 s[38:39], s[42:43], exec
	s_or_b64 s[30:31], s[30:31], s[38:39]
	s_andn2_b64 s[28:29], s[28:29], exec
	s_and_b64 s[38:39], s[40:41], exec
	s_or_b64 s[28:29], s[28:29], s[38:39]
.LBB22_21:                              ;   in Loop: Header=BB22_22 Depth=2
	s_or_b64 exec, exec, s[36:37]
	s_and_b64 s[36:37], exec, s[28:29]
	s_or_b64 s[26:27], s[36:37], s[26:27]
	s_andn2_b64 s[18:19], s[18:19], exec
	s_and_b64 s[36:37], s[30:31], exec
	s_or_b64 s[18:19], s[18:19], s[36:37]
	s_andn2_b64 exec, exec, s[26:27]
	s_cbranch_execz .LBB22_31
.LBB22_22:                              ;   Parent Loop BB22_13 Depth=1
                                        ; =>  This Inner Loop Header: Depth=2
	v_and_b32_e32 v16, 0xff, v17
	v_lshl_add_u32 v21, v16, 2, v20
	ds_read_b32 v22, v21
	s_or_b64 s[30:31], s[30:31], exec
	s_or_b64 s[28:29], s[28:29], exec
	s_waitcnt lgkmcnt(0)
	v_cmp_ne_u32_e32 vcc, v22, v11
	s_and_saveexec_b64 s[36:37], vcc
	s_cbranch_execz .LBB22_21
; %bb.23:                               ;   in Loop: Header=BB22_22 Depth=2
	ds_cmpst_rtn_b32 v21, v21, v14, v11
	s_mov_b64 s[40:41], -1
	s_mov_b64 s[42:43], 0
	s_waitcnt lgkmcnt(0)
	v_cmp_ne_u32_e32 vcc, -1, v21
	s_and_saveexec_b64 s[38:39], vcc
	s_cbranch_execz .LBB22_20
; %bb.24:                               ;   in Loop: Header=BB22_22 Depth=2
	v_add_u32_e32 v16, 1, v17
	v_and_b32_e32 v16, 0xff, v16
	v_lshl_add_u32 v21, v16, 2, v20
	ds_read_b32 v22, v21
	s_mov_b64 s[44:45], -1
	s_mov_b64 s[42:43], -1
	s_waitcnt lgkmcnt(0)
	v_cmp_ne_u32_e32 vcc, v22, v11
	s_and_saveexec_b64 s[40:41], vcc
	s_cbranch_execz .LBB22_19
; %bb.25:                               ;   in Loop: Header=BB22_22 Depth=2
	ds_cmpst_rtn_b32 v21, v21, v14, v11
	s_mov_b64 s[48:49], 0
	s_waitcnt lgkmcnt(0)
	v_cmp_ne_u32_e32 vcc, -1, v21
	s_and_saveexec_b64 s[42:43], vcc
	s_cbranch_execz .LBB22_18
; %bb.26:                               ;   in Loop: Header=BB22_22 Depth=2
	v_add_u32_e32 v16, 2, v17
	v_and_b32_e32 v16, 0xff, v16
	v_lshl_add_u32 v21, v16, 2, v20
	ds_read_b32 v22, v21
	s_mov_b64 s[46:47], -1
	s_mov_b64 s[50:51], -1
	s_waitcnt lgkmcnt(0)
	v_cmp_ne_u32_e32 vcc, v22, v11
	s_and_saveexec_b64 s[44:45], vcc
	s_cbranch_execz .LBB22_17
; %bb.27:                               ;   in Loop: Header=BB22_22 Depth=2
	ds_cmpst_rtn_b32 v21, v21, v14, v11
	s_mov_b64 s[48:49], -1
	s_mov_b64 s[50:51], 0
	s_waitcnt lgkmcnt(0)
	v_cmp_ne_u32_e32 vcc, -1, v21
	s_and_saveexec_b64 s[46:47], vcc
	s_cbranch_execz .LBB22_16
; %bb.28:                               ;   in Loop: Header=BB22_22 Depth=2
	v_add_u32_e32 v16, 3, v17
	v_and_b32_e32 v16, 0xff, v16
	v_lshl_add_u32 v21, v16, 2, v20
	ds_read_b32 v17, v21
	s_mov_b64 s[52:53], -1
	s_mov_b64 s[50:51], -1
	s_waitcnt lgkmcnt(0)
	v_cmp_ne_u32_e32 vcc, v17, v11
                                        ; implicit-def: $vgpr17
	s_and_saveexec_b64 s[48:49], vcc
	s_cbranch_execz .LBB22_15
; %bb.29:                               ;   in Loop: Header=BB22_22 Depth=2
	ds_cmpst_rtn_b32 v17, v21, v14, v11
	s_mov_b64 s[50:51], 0
	s_waitcnt lgkmcnt(0)
	v_cmp_ne_u32_e32 vcc, -1, v17
                                        ; implicit-def: $vgpr17
	s_and_saveexec_b64 s[54:55], vcc
	s_cbranch_execz .LBB22_14
; %bb.30:                               ;   in Loop: Header=BB22_22 Depth=2
	v_add_u32_e32 v15, -4, v15
	v_cmp_eq_u32_e32 vcc, 0, v15
	s_mov_b64 s[50:51], exec
	v_add_u32_e32 v17, 1, v16
	s_orn2_b64 s[52:53], vcc, exec
	s_branch .LBB22_14
.LBB22_31:                              ;   in Loop: Header=BB22_13 Depth=1
	s_or_b64 exec, exec, s[26:27]
	s_xor_b64 s[18:19], s[18:19], -1
	s_and_saveexec_b64 s[26:27], s[18:19]
	s_xor_b64 s[18:19], exec, s[26:27]
	s_cbranch_execz .LBB22_12
; %bb.32:                               ;   in Loop: Header=BB22_13 Depth=1
	v_lshl_add_u32 v11, v16, 2, v0
	ds_write_b32 v11, v10
	s_branch .LBB22_12
.LBB22_33:
	s_or_b64 exec, exec, s[0:1]
	s_waitcnt vmcnt(0)
	v_cmp_lt_i32_e32 vcc, v9, v8
	s_waitcnt lgkmcnt(0)
	s_and_saveexec_b64 s[0:1], vcc
	s_cbranch_execz .LBB22_63
; %bb.34:
	s_mov_b64 s[6:7], 0
	v_mov_b32_e32 v21, s11
	v_mov_b32_e32 v22, s13
	;; [unrolled: 1-line block ×5, first 2 shown]
	s_movk_i32 s9, 0x67
	s_branch .LBB22_37
.LBB22_35:                              ;   in Loop: Header=BB22_37 Depth=1
	s_or_b64 exec, exec, s[26:27]
	v_add_u32_e32 v9, 1, v9
	v_cmp_ge_i32_e32 vcc, v9, v8
	s_orn2_b64 s[26:27], vcc, exec
.LBB22_36:                              ;   in Loop: Header=BB22_37 Depth=1
	s_or_b64 exec, exec, s[18:19]
	s_and_b64 s[18:19], exec, s[26:27]
	s_or_b64 s[6:7], s[18:19], s[6:7]
	s_andn2_b64 exec, exec, s[6:7]
	s_cbranch_execz .LBB22_63
.LBB22_37:                              ; =>This Loop Header: Depth=1
                                        ;     Child Loop BB22_38 Depth 2
                                        ;     Child Loop BB22_43 Depth 2
                                        ;       Child Loop BB22_52 Depth 3
	v_ashrrev_i32_e32 v10, 31, v9
	v_lshlrev_b64 v[11:12], 2, v[9:10]
	s_mov_b64 s[18:19], 0
	v_add_co_u32_e32 v11, vcc, s10, v11
	v_addc_co_u32_e32 v12, vcc, v21, v12, vcc
	global_load_dword v12, v[11:12], off
	v_lshlrev_b64 v[10:11], 3, v[9:10]
	v_add_co_u32_e32 v13, vcc, s12, v10
	v_addc_co_u32_e32 v14, vcc, v22, v11, vcc
	global_load_dwordx2 v[10:11], v[13:14], off
	s_waitcnt vmcnt(1)
	v_subrev_u32_e32 v15, s34, v12
	v_ashrrev_i32_e32 v16, 31, v15
	v_lshlrev_b64 v[15:16], 2, v[15:16]
	v_add_co_u32_e32 v26, vcc, s8, v15
	v_addc_co_u32_e32 v27, vcc, v23, v16, vcc
	v_add_co_u32_e32 v28, vcc, s14, v15
	v_addc_co_u32_e32 v29, vcc, v24, v16, vcc
	global_load_dword v12, v[26:27], off offset:4
	global_load_dword v17, v[28:29], off
	v_add_co_u32_e32 v15, vcc, s16, v15
	v_addc_co_u32_e32 v16, vcc, v25, v16, vcc
.LBB22_38:                              ;   Parent Loop BB22_37 Depth=1
                                        ; =>  This Inner Loop Header: Depth=2
	global_load_dword v26, v[15:16], off glc
	s_waitcnt vmcnt(0)
	v_cmp_ne_u32_e32 vcc, 0, v26
	s_or_b64 s[18:19], vcc, s[18:19]
	s_andn2_b64 exec, exec, s[18:19]
	s_cbranch_execnz .LBB22_38
; %bb.39:                               ;   in Loop: Header=BB22_37 Depth=1
	s_or_b64 exec, exec, s[18:19]
	v_subrev_u32_e32 v26, s34, v12
	v_add_u32_e32 v12, -1, v26
	v_cmp_eq_u32_e32 vcc, -1, v17
	v_cndmask_b32_e32 v15, v17, v12, vcc
	v_ashrrev_i32_e32 v16, 31, v15
	v_lshlrev_b64 v[16:17], 3, v[15:16]
	buffer_wbinvl1_vol
	v_add_co_u32_e32 v16, vcc, s12, v16
	v_addc_co_u32_e32 v17, vcc, v22, v17, vcc
	global_load_dwordx2 v[16:17], v[16:17], off
	s_mov_b64 s[26:27], -1
	s_waitcnt vmcnt(0)
	v_cmp_neq_f64_e32 vcc, 0, v[16:17]
	s_and_saveexec_b64 s[18:19], vcc
	s_cbranch_execz .LBB22_36
; %bb.40:                               ;   in Loop: Header=BB22_37 Depth=1
	v_div_scale_f64 v[27:28], s[26:27], v[16:17], v[16:17], v[10:11]
	v_add_u32_e32 v12, 1, v18
	v_add_u32_e32 v12, v12, v15
	v_rcp_f64_e32 v[29:30], v[27:28]
	v_fma_f64 v[31:32], -v[27:28], v[29:30], 1.0
	v_fma_f64 v[29:30], v[29:30], v[31:32], v[29:30]
	v_div_scale_f64 v[31:32], vcc, v[10:11], v[16:17], v[10:11]
	v_fma_f64 v[33:34], -v[27:28], v[29:30], 1.0
	v_fma_f64 v[29:30], v[29:30], v[33:34], v[29:30]
	v_mul_f64 v[33:34], v[31:32], v[29:30]
	v_fma_f64 v[27:28], -v[27:28], v[33:34], v[31:32]
	v_div_fmas_f64 v[27:28], v[27:28], v[29:30], v[33:34]
	v_cmp_lt_i32_e32 vcc, v12, v26
	v_div_fixup_f64 v[10:11], v[27:28], v[16:17], v[10:11]
	global_store_dwordx2 v[13:14], v[10:11], off
	s_and_saveexec_b64 s[26:27], vcc
	s_cbranch_execz .LBB22_35
; %bb.41:                               ;   in Loop: Header=BB22_37 Depth=1
	s_mov_b64 s[28:29], 0
	s_branch .LBB22_43
.LBB22_42:                              ;   in Loop: Header=BB22_43 Depth=2
	s_or_b64 exec, exec, s[30:31]
	v_add_u32_e32 v12, 64, v12
	v_cmp_ge_i32_e32 vcc, v12, v26
	s_or_b64 s[28:29], vcc, s[28:29]
	s_andn2_b64 exec, exec, s[28:29]
	s_cbranch_execz .LBB22_35
.LBB22_43:                              ;   Parent Loop BB22_37 Depth=1
                                        ; =>  This Loop Header: Depth=2
                                        ;       Child Loop BB22_52 Depth 3
	v_ashrrev_i32_e32 v13, 31, v12
	v_lshlrev_b64 v[14:15], 2, v[12:13]
	s_mov_b64 s[36:37], 0
	v_add_co_u32_e32 v14, vcc, s10, v14
	v_addc_co_u32_e32 v15, vcc, v21, v15, vcc
	global_load_dword v14, v[14:15], off
	v_mov_b32_e32 v15, 0x100
                                        ; implicit-def: $sgpr30_sgpr31
                                        ; implicit-def: $sgpr38_sgpr39
                                        ; implicit-def: $sgpr40_sgpr41
	s_waitcnt vmcnt(0)
	v_mul_lo_u32 v17, v14, s9
	s_branch .LBB22_52
.LBB22_44:                              ;   in Loop: Header=BB22_52 Depth=3
	s_or_b64 exec, exec, s[60:61]
	s_orn2_b64 s[56:57], s[56:57], exec
	s_orn2_b64 s[58:59], s[58:59], exec
.LBB22_45:                              ;   in Loop: Header=BB22_52 Depth=3
	s_or_b64 exec, exec, s[54:55]
	s_and_b64 s[56:57], s[56:57], exec
	s_orn2_b64 s[54:55], s[58:59], exec
.LBB22_46:                              ;   in Loop: Header=BB22_52 Depth=3
	s_or_b64 exec, exec, s[52:53]
	s_orn2_b64 s[56:57], s[56:57], exec
	s_orn2_b64 s[52:53], s[54:55], exec
.LBB22_47:                              ;   in Loop: Header=BB22_52 Depth=3
	s_or_b64 exec, exec, s[50:51]
	s_and_b64 s[54:55], s[56:57], exec
	s_orn2_b64 s[50:51], s[52:53], exec
.LBB22_48:                              ;   in Loop: Header=BB22_52 Depth=3
	s_or_b64 exec, exec, s[48:49]
	s_orn2_b64 s[48:49], s[54:55], exec
	s_orn2_b64 s[50:51], s[50:51], exec
.LBB22_49:                              ;   in Loop: Header=BB22_52 Depth=3
	s_or_b64 exec, exec, s[46:47]
	s_and_b64 s[48:49], s[48:49], exec
	s_orn2_b64 s[46:47], s[50:51], exec
.LBB22_50:                              ;   in Loop: Header=BB22_52 Depth=3
	s_or_b64 exec, exec, s[44:45]
	s_andn2_b64 s[40:41], s[40:41], exec
	s_and_b64 s[44:45], s[48:49], exec
	s_or_b64 s[40:41], s[40:41], s[44:45]
	s_andn2_b64 s[38:39], s[38:39], exec
	s_and_b64 s[44:45], s[46:47], exec
	s_or_b64 s[38:39], s[38:39], s[44:45]
.LBB22_51:                              ;   in Loop: Header=BB22_52 Depth=3
	s_or_b64 exec, exec, s[42:43]
	s_and_b64 s[42:43], exec, s[38:39]
	s_or_b64 s[36:37], s[42:43], s[36:37]
	s_andn2_b64 s[30:31], s[30:31], exec
	s_and_b64 s[42:43], s[40:41], exec
	s_or_b64 s[30:31], s[30:31], s[42:43]
	s_andn2_b64 exec, exec, s[36:37]
	s_cbranch_execz .LBB22_61
.LBB22_52:                              ;   Parent Loop BB22_37 Depth=1
                                        ;     Parent Loop BB22_43 Depth=2
                                        ; =>    This Inner Loop Header: Depth=3
	v_and_b32_e32 v16, 0xff, v17
	v_lshl_add_u32 v27, v16, 2, v20
	ds_read_b32 v27, v27
	s_or_b64 s[40:41], s[40:41], exec
	s_or_b64 s[38:39], s[38:39], exec
	s_waitcnt lgkmcnt(0)
	v_cmp_ne_u32_e32 vcc, -1, v27
	s_and_saveexec_b64 s[42:43], vcc
	s_cbranch_execz .LBB22_51
; %bb.53:                               ;   in Loop: Header=BB22_52 Depth=3
	v_cmp_ne_u32_e32 vcc, v27, v14
	s_mov_b64 s[46:47], -1
	s_mov_b64 s[48:49], 0
	s_and_saveexec_b64 s[44:45], vcc
	s_cbranch_execz .LBB22_50
; %bb.54:                               ;   in Loop: Header=BB22_52 Depth=3
	v_add_u32_e32 v16, 1, v17
	v_and_b32_e32 v16, 0xff, v16
	v_lshl_add_u32 v27, v16, 2, v20
	ds_read_b32 v27, v27
	s_mov_b64 s[50:51], -1
	s_mov_b64 s[48:49], -1
	s_waitcnt lgkmcnt(0)
	v_cmp_ne_u32_e32 vcc, -1, v27
	s_and_saveexec_b64 s[46:47], vcc
	s_cbranch_execz .LBB22_49
; %bb.55:                               ;   in Loop: Header=BB22_52 Depth=3
	v_cmp_ne_u32_e32 vcc, v27, v14
	s_mov_b64 s[54:55], 0
	s_and_saveexec_b64 s[48:49], vcc
	s_cbranch_execz .LBB22_48
; %bb.56:                               ;   in Loop: Header=BB22_52 Depth=3
	v_add_u32_e32 v16, 2, v17
	v_and_b32_e32 v16, 0xff, v16
	v_lshl_add_u32 v27, v16, 2, v20
	ds_read_b32 v27, v27
	s_mov_b64 s[52:53], -1
	s_mov_b64 s[56:57], -1
	s_waitcnt lgkmcnt(0)
	v_cmp_ne_u32_e32 vcc, -1, v27
	s_and_saveexec_b64 s[50:51], vcc
	s_cbranch_execz .LBB22_47
; %bb.57:                               ;   in Loop: Header=BB22_52 Depth=3
	v_cmp_ne_u32_e32 vcc, v27, v14
	s_mov_b64 s[54:55], -1
	s_mov_b64 s[56:57], 0
	s_and_saveexec_b64 s[52:53], vcc
	s_cbranch_execz .LBB22_46
; %bb.58:                               ;   in Loop: Header=BB22_52 Depth=3
	v_add_u32_e32 v16, 3, v17
	v_and_b32_e32 v16, 0xff, v16
	v_lshl_add_u32 v17, v16, 2, v20
	ds_read_b32 v27, v17
	s_mov_b64 s[58:59], -1
	s_mov_b64 s[56:57], -1
                                        ; implicit-def: $vgpr17
	s_waitcnt lgkmcnt(0)
	v_cmp_ne_u32_e32 vcc, -1, v27
	s_and_saveexec_b64 s[54:55], vcc
	s_cbranch_execz .LBB22_45
; %bb.59:                               ;   in Loop: Header=BB22_52 Depth=3
	v_cmp_ne_u32_e32 vcc, v27, v14
	s_mov_b64 s[56:57], 0
                                        ; implicit-def: $vgpr17
	s_and_saveexec_b64 s[60:61], vcc
	s_cbranch_execz .LBB22_44
; %bb.60:                               ;   in Loop: Header=BB22_52 Depth=3
	v_add_u32_e32 v15, -4, v15
	v_cmp_eq_u32_e32 vcc, 0, v15
	s_mov_b64 s[56:57], exec
	v_add_u32_e32 v17, 1, v16
	s_orn2_b64 s[58:59], vcc, exec
	s_branch .LBB22_44
.LBB22_61:                              ;   in Loop: Header=BB22_43 Depth=2
	s_or_b64 exec, exec, s[36:37]
	s_xor_b64 s[30:31], s[30:31], -1
	s_and_saveexec_b64 s[36:37], s[30:31]
	s_xor_b64 s[30:31], exec, s[36:37]
	s_cbranch_execz .LBB22_42
; %bb.62:                               ;   in Loop: Header=BB22_43 Depth=2
	v_lshl_add_u32 v14, v16, 2, v0
	ds_read_b32 v14, v14
	v_lshlrev_b64 v[16:17], 3, v[12:13]
	v_add_co_u32_e32 v16, vcc, s12, v16
	s_waitcnt lgkmcnt(0)
	v_ashrrev_i32_e32 v15, 31, v14
	v_lshlrev_b64 v[13:14], 3, v[14:15]
	v_addc_co_u32_e32 v17, vcc, v22, v17, vcc
	v_add_co_u32_e32 v13, vcc, s12, v13
	v_addc_co_u32_e32 v14, vcc, v22, v14, vcc
	global_load_dwordx2 v[27:28], v[16:17], off
	global_load_dwordx2 v[29:30], v[13:14], off
	s_waitcnt vmcnt(0)
	v_fma_f64 v[15:16], -v[10:11], v[27:28], v[29:30]
	global_store_dwordx2 v[13:14], v[15:16], off
	s_branch .LBB22_42
.LBB22_63:
	s_or_b64 exec, exec, s[0:1]
	v_cmp_lt_i32_e32 vcc, -1, v8
	s_and_saveexec_b64 s[6:7], vcc
	s_cbranch_execz .LBB22_79
; %bb.64:
	v_mov_b32_e32 v9, 0
	v_lshlrev_b64 v[8:9], 3, v[8:9]
	v_mov_b32_e32 v0, s13
	v_add_co_u32_e32 v10, vcc, s12, v8
	v_addc_co_u32_e32 v11, vcc, v0, v9, vcc
	global_load_dwordx2 v[8:9], v[10:11], off
	s_andn2_b64 vcc, exec, s[2:3]
	v_cmp_eq_u32_e64 s[0:1], 0, v18
	s_waitcnt vmcnt(0)
	v_cmp_gt_f64_e64 s[2:3], 0, v[8:9]
	v_xor_b32_e32 v0, 0x80000000, v9
	v_mov_b32_e32 v12, v8
	v_cndmask_b32_e64 v13, v9, v0, s[2:3]
	s_mov_b64 s[2:3], -1
	s_cbranch_vccnz .LBB22_68
; %bb.65:
	v_cvt_f64_f32_e32 v[14:15], v19
	s_cmp_eq_u64 s[24:25], 8
	s_cselect_b64 vcc, -1, 0
	v_cndmask_b32_e32 v4, v15, v4, vcc
	v_cndmask_b32_e32 v3, v14, v3, vcc
	v_cmp_le_f64_e32 vcc, v[12:13], v[3:4]
	s_and_b64 s[8:9], s[0:1], vcc
	s_and_saveexec_b64 s[2:3], s[8:9]
	s_cbranch_execz .LBB22_67
; %bb.66:
	global_store_dwordx2 v[10:11], v[5:6], off
	s_waitcnt vmcnt(0)
	buffer_wbinvl1_vol
.LBB22_67:
	s_or_b64 exec, exec, s[2:3]
	s_mov_b64 s[2:3], 0
.LBB22_68:
	s_andn2_b64 vcc, exec, s[2:3]
	s_cbranch_vccnz .LBB22_79
; %bb.69:
	s_load_dwordx2 s[2:3], s[4:5], 0x48
	v_add_u32_e32 v0, s34, v7
	s_waitcnt lgkmcnt(0)
	v_cmp_ge_f64_e32 vcc, s[2:3], v[12:13]
	s_and_b64 s[4:5], s[0:1], vcc
	s_and_saveexec_b64 s[2:3], s[4:5]
	s_cbranch_execz .LBB22_74
; %bb.70:
	s_mov_b64 s[4:5], exec
	s_brev_b32 s8, -2
.LBB22_71:                              ; =>This Inner Loop Header: Depth=1
	s_ff1_i32_b64 s9, s[4:5]
	v_readlane_b32 s12, v0, s9
	s_lshl_b64 s[10:11], 1, s9
	s_min_i32 s8, s8, s12
	s_andn2_b64 s[4:5], s[4:5], s[10:11]
	s_cmp_lg_u64 s[4:5], 0
	s_cbranch_scc1 .LBB22_71
; %bb.72:
	v_mbcnt_lo_u32_b32 v3, exec_lo, 0
	v_mbcnt_hi_u32_b32 v3, exec_hi, v3
	v_cmp_eq_u32_e32 vcc, 0, v3
	s_and_saveexec_b64 s[4:5], vcc
	s_xor_b64 s[4:5], exec, s[4:5]
	s_cbranch_execz .LBB22_74
; %bb.73:
	v_mov_b32_e32 v3, 0
	v_mov_b32_e32 v4, s8
	global_atomic_smin v3, v4, s[22:23]
.LBB22_74:
	s_or_b64 exec, exec, s[2:3]
	v_cmp_eq_f64_e32 vcc, 0, v[8:9]
	s_and_b64 s[0:1], s[0:1], vcc
	s_and_b64 exec, exec, s[0:1]
	s_cbranch_execz .LBB22_79
; %bb.75:
	s_mov_b64 s[0:1], exec
	s_brev_b32 s2, -2
.LBB22_76:                              ; =>This Inner Loop Header: Depth=1
	s_ff1_i32_b64 s3, s[0:1]
	v_readlane_b32 s8, v0, s3
	s_lshl_b64 s[4:5], 1, s3
	s_min_i32 s2, s2, s8
	s_andn2_b64 s[0:1], s[0:1], s[4:5]
	s_cmp_lg_u64 s[0:1], 0
	s_cbranch_scc1 .LBB22_76
; %bb.77:
	v_mbcnt_lo_u32_b32 v0, exec_lo, 0
	v_mbcnt_hi_u32_b32 v0, exec_hi, v0
	v_cmp_eq_u32_e32 vcc, 0, v0
	s_and_saveexec_b64 s[0:1], vcc
	s_xor_b64 s[0:1], exec, s[0:1]
	s_cbranch_execz .LBB22_79
; %bb.78:
	v_mov_b32_e32 v0, 0
	v_mov_b32_e32 v3, s2
	global_atomic_smin v0, v3, s[20:21]
.LBB22_79:
	s_or_b64 exec, exec, s[6:7]
	v_cmp_eq_u32_e32 vcc, 0, v18
	s_waitcnt vmcnt(0)
	buffer_wbinvl1_vol
	s_and_b64 exec, exec, vcc
	s_cbranch_execz .LBB22_81
; %bb.80:
	v_mov_b32_e32 v3, s17
	v_add_co_u32_e32 v0, vcc, s16, v1
	v_addc_co_u32_e32 v1, vcc, v3, v2, vcc
	v_mov_b32_e32 v2, 1
	global_store_dword v[0:1], v2, off
.LBB22_81:
	s_endpgm
	.section	.rodata,"a",@progbits
	.p2align	6, 0x0
	.amdhsa_kernel _ZN9rocsparseL12csrilu0_hashILj256ELj64ELj4EdEEviPKiS2_PT2_S2_PiS2_S5_S5_d21rocsparse_index_base_imNS_24const_host_device_scalarIfEENS7_IdEENS7_IS3_EEb
		.amdhsa_group_segment_fixed_size 8192
		.amdhsa_private_segment_fixed_size 0
		.amdhsa_kernarg_size 124
		.amdhsa_user_sgpr_count 6
		.amdhsa_user_sgpr_private_segment_buffer 1
		.amdhsa_user_sgpr_dispatch_ptr 0
		.amdhsa_user_sgpr_queue_ptr 0
		.amdhsa_user_sgpr_kernarg_segment_ptr 1
		.amdhsa_user_sgpr_dispatch_id 0
		.amdhsa_user_sgpr_flat_scratch_init 0
		.amdhsa_user_sgpr_private_segment_size 0
		.amdhsa_uses_dynamic_stack 0
		.amdhsa_system_sgpr_private_segment_wavefront_offset 0
		.amdhsa_system_sgpr_workgroup_id_x 1
		.amdhsa_system_sgpr_workgroup_id_y 0
		.amdhsa_system_sgpr_workgroup_id_z 0
		.amdhsa_system_sgpr_workgroup_info 0
		.amdhsa_system_vgpr_workitem_id 0
		.amdhsa_next_free_vgpr 35
		.amdhsa_next_free_sgpr 62
		.amdhsa_reserve_vcc 1
		.amdhsa_reserve_flat_scratch 0
		.amdhsa_float_round_mode_32 0
		.amdhsa_float_round_mode_16_64 0
		.amdhsa_float_denorm_mode_32 3
		.amdhsa_float_denorm_mode_16_64 3
		.amdhsa_dx10_clamp 1
		.amdhsa_ieee_mode 1
		.amdhsa_fp16_overflow 0
		.amdhsa_exception_fp_ieee_invalid_op 0
		.amdhsa_exception_fp_denorm_src 0
		.amdhsa_exception_fp_ieee_div_zero 0
		.amdhsa_exception_fp_ieee_overflow 0
		.amdhsa_exception_fp_ieee_underflow 0
		.amdhsa_exception_fp_ieee_inexact 0
		.amdhsa_exception_int_div_zero 0
	.end_amdhsa_kernel
	.section	.text._ZN9rocsparseL12csrilu0_hashILj256ELj64ELj4EdEEviPKiS2_PT2_S2_PiS2_S5_S5_d21rocsparse_index_base_imNS_24const_host_device_scalarIfEENS7_IdEENS7_IS3_EEb,"axG",@progbits,_ZN9rocsparseL12csrilu0_hashILj256ELj64ELj4EdEEviPKiS2_PT2_S2_PiS2_S5_S5_d21rocsparse_index_base_imNS_24const_host_device_scalarIfEENS7_IdEENS7_IS3_EEb,comdat
.Lfunc_end22:
	.size	_ZN9rocsparseL12csrilu0_hashILj256ELj64ELj4EdEEviPKiS2_PT2_S2_PiS2_S5_S5_d21rocsparse_index_base_imNS_24const_host_device_scalarIfEENS7_IdEENS7_IS3_EEb, .Lfunc_end22-_ZN9rocsparseL12csrilu0_hashILj256ELj64ELj4EdEEviPKiS2_PT2_S2_PiS2_S5_S5_d21rocsparse_index_base_imNS_24const_host_device_scalarIfEENS7_IdEENS7_IS3_EEb
                                        ; -- End function
	.set _ZN9rocsparseL12csrilu0_hashILj256ELj64ELj4EdEEviPKiS2_PT2_S2_PiS2_S5_S5_d21rocsparse_index_base_imNS_24const_host_device_scalarIfEENS7_IdEENS7_IS3_EEb.num_vgpr, 35
	.set _ZN9rocsparseL12csrilu0_hashILj256ELj64ELj4EdEEviPKiS2_PT2_S2_PiS2_S5_S5_d21rocsparse_index_base_imNS_24const_host_device_scalarIfEENS7_IdEENS7_IS3_EEb.num_agpr, 0
	.set _ZN9rocsparseL12csrilu0_hashILj256ELj64ELj4EdEEviPKiS2_PT2_S2_PiS2_S5_S5_d21rocsparse_index_base_imNS_24const_host_device_scalarIfEENS7_IdEENS7_IS3_EEb.numbered_sgpr, 62
	.set _ZN9rocsparseL12csrilu0_hashILj256ELj64ELj4EdEEviPKiS2_PT2_S2_PiS2_S5_S5_d21rocsparse_index_base_imNS_24const_host_device_scalarIfEENS7_IdEENS7_IS3_EEb.num_named_barrier, 0
	.set _ZN9rocsparseL12csrilu0_hashILj256ELj64ELj4EdEEviPKiS2_PT2_S2_PiS2_S5_S5_d21rocsparse_index_base_imNS_24const_host_device_scalarIfEENS7_IdEENS7_IS3_EEb.private_seg_size, 0
	.set _ZN9rocsparseL12csrilu0_hashILj256ELj64ELj4EdEEviPKiS2_PT2_S2_PiS2_S5_S5_d21rocsparse_index_base_imNS_24const_host_device_scalarIfEENS7_IdEENS7_IS3_EEb.uses_vcc, 1
	.set _ZN9rocsparseL12csrilu0_hashILj256ELj64ELj4EdEEviPKiS2_PT2_S2_PiS2_S5_S5_d21rocsparse_index_base_imNS_24const_host_device_scalarIfEENS7_IdEENS7_IS3_EEb.uses_flat_scratch, 0
	.set _ZN9rocsparseL12csrilu0_hashILj256ELj64ELj4EdEEviPKiS2_PT2_S2_PiS2_S5_S5_d21rocsparse_index_base_imNS_24const_host_device_scalarIfEENS7_IdEENS7_IS3_EEb.has_dyn_sized_stack, 0
	.set _ZN9rocsparseL12csrilu0_hashILj256ELj64ELj4EdEEviPKiS2_PT2_S2_PiS2_S5_S5_d21rocsparse_index_base_imNS_24const_host_device_scalarIfEENS7_IdEENS7_IS3_EEb.has_recursion, 0
	.set _ZN9rocsparseL12csrilu0_hashILj256ELj64ELj4EdEEviPKiS2_PT2_S2_PiS2_S5_S5_d21rocsparse_index_base_imNS_24const_host_device_scalarIfEENS7_IdEENS7_IS3_EEb.has_indirect_call, 0
	.section	.AMDGPU.csdata,"",@progbits
; Kernel info:
; codeLenInByte = 2600
; TotalNumSgprs: 66
; NumVgprs: 35
; ScratchSize: 0
; MemoryBound: 0
; FloatMode: 240
; IeeeMode: 1
; LDSByteSize: 8192 bytes/workgroup (compile time only)
; SGPRBlocks: 8
; VGPRBlocks: 8
; NumSGPRsForWavesPerEU: 66
; NumVGPRsForWavesPerEU: 35
; Occupancy: 7
; WaveLimiterHint : 1
; COMPUTE_PGM_RSRC2:SCRATCH_EN: 0
; COMPUTE_PGM_RSRC2:USER_SGPR: 6
; COMPUTE_PGM_RSRC2:TRAP_HANDLER: 0
; COMPUTE_PGM_RSRC2:TGID_X_EN: 1
; COMPUTE_PGM_RSRC2:TGID_Y_EN: 0
; COMPUTE_PGM_RSRC2:TGID_Z_EN: 0
; COMPUTE_PGM_RSRC2:TIDIG_COMP_CNT: 0
	.section	.text._ZN9rocsparseL12csrilu0_hashILj256ELj64ELj8EdEEviPKiS2_PT2_S2_PiS2_S5_S5_d21rocsparse_index_base_imNS_24const_host_device_scalarIfEENS7_IdEENS7_IS3_EEb,"axG",@progbits,_ZN9rocsparseL12csrilu0_hashILj256ELj64ELj8EdEEviPKiS2_PT2_S2_PiS2_S5_S5_d21rocsparse_index_base_imNS_24const_host_device_scalarIfEENS7_IdEENS7_IS3_EEb,comdat
	.globl	_ZN9rocsparseL12csrilu0_hashILj256ELj64ELj8EdEEviPKiS2_PT2_S2_PiS2_S5_S5_d21rocsparse_index_base_imNS_24const_host_device_scalarIfEENS7_IdEENS7_IS3_EEb ; -- Begin function _ZN9rocsparseL12csrilu0_hashILj256ELj64ELj8EdEEviPKiS2_PT2_S2_PiS2_S5_S5_d21rocsparse_index_base_imNS_24const_host_device_scalarIfEENS7_IdEENS7_IS3_EEb
	.p2align	8
	.type	_ZN9rocsparseL12csrilu0_hashILj256ELj64ELj8EdEEviPKiS2_PT2_S2_PiS2_S5_S5_d21rocsparse_index_base_imNS_24const_host_device_scalarIfEENS7_IdEENS7_IS3_EEb,@function
_ZN9rocsparseL12csrilu0_hashILj256ELj64ELj8EdEEviPKiS2_PT2_S2_PiS2_S5_S5_d21rocsparse_index_base_imNS_24const_host_device_scalarIfEENS7_IdEENS7_IS3_EEb: ; @_ZN9rocsparseL12csrilu0_hashILj256ELj64ELj8EdEEviPKiS2_PT2_S2_PiS2_S5_S5_d21rocsparse_index_base_imNS_24const_host_device_scalarIfEENS7_IdEENS7_IS3_EEb
; %bb.0:
	s_load_dword s0, s[4:5], 0x78
	s_load_dwordx2 s[34:35], s[4:5], 0x50
	s_load_dwordx8 s[24:31], s[4:5], 0x58
	s_waitcnt lgkmcnt(0)
	s_bitcmp1_b32 s0, 0
	s_cselect_b64 s[0:1], -1, 0
	s_cmp_eq_u32 s35, 0
	s_cselect_b64 s[8:9], -1, 0
	s_cmp_lg_u32 s35, 0
	s_cselect_b64 s[2:3], -1, 0
	s_or_b64 s[0:1], s[8:9], s[0:1]
	s_xor_b64 s[10:11], s[0:1], -1
	s_and_b64 s[12:13], s[8:9], exec
	s_cselect_b32 s13, 0, s29
	s_cselect_b32 s12, 0, s28
	s_and_b64 vcc, exec, s[0:1]
	s_cbranch_vccnz .LBB23_2
; %bb.1:
	s_load_dword s0, s[26:27], 0x0
	s_mov_b64 s[12:13], s[28:29]
	s_waitcnt lgkmcnt(0)
	v_mov_b32_e32 v19, s0
	s_branch .LBB23_3
.LBB23_2:
	v_mov_b32_e32 v1, s26
	v_cndmask_b32_e64 v19, v1, 0, s[8:9]
.LBB23_3:
	v_cndmask_b32_e64 v1, 0, 1, s[10:11]
	v_mov_b32_e32 v3, s12
	v_cmp_ne_u32_e64 s[0:1], 1, v1
	s_andn2_b64 vcc, exec, s[10:11]
	v_mov_b32_e32 v4, s13
	s_cbranch_vccnz .LBB23_5
; %bb.4:
	v_mov_b32_e32 v1, s28
	v_mov_b32_e32 v2, s29
	flat_load_dwordx2 v[3:4], v[1:2]
.LBB23_5:
	s_and_b64 s[8:9], s[8:9], exec
	s_cselect_b32 s8, 0, s30
	s_cselect_b32 s9, 0, s31
	v_mov_b32_e32 v5, s8
	s_and_b64 vcc, exec, s[0:1]
	v_mov_b32_e32 v6, s9
	s_cbranch_vccnz .LBB23_7
; %bb.6:
	v_mov_b32_e32 v1, s30
	v_mov_b32_e32 v2, s31
	flat_load_dwordx2 v[5:6], v[1:2]
.LBB23_7:
	v_and_b32_e32 v18, 63, v0
	v_lshrrev_b32_e32 v1, 6, v0
	v_lshlrev_b32_e32 v7, 11, v1
	v_lshlrev_b32_e32 v8, 2, v18
	s_movk_i32 s0, 0x2000
	v_or_b32_e32 v2, 0xffffffc0, v18
	v_or3_b32 v7, v7, v8, s0
	s_mov_b64 s[0:1], 0
	v_mov_b32_e32 v8, -1
	s_movk_i32 s7, 0x1bf
.LBB23_8:                               ; =>This Inner Loop Header: Depth=1
	v_add_u32_e32 v2, 64, v2
	v_cmp_lt_u32_e32 vcc, s7, v2
	ds_write_b32 v7, v8
	s_or_b64 s[0:1], vcc, s[0:1]
	v_add_u32_e32 v7, 0x100, v7
	s_andn2_b64 exec, exec, s[0:1]
	s_cbranch_execnz .LBB23_8
; %bb.9:
	s_or_b64 exec, exec, s[0:1]
	s_load_dword s0, s[4:5], 0x0
	s_lshl_b32 s1, s6, 2
	s_and_b32 s1, s1, 0x3fffffc
	v_or_b32_e32 v1, s1, v1
	s_waitcnt lgkmcnt(0)
	v_cmp_gt_i32_e32 vcc, s0, v1
	s_and_saveexec_b64 s[0:1], vcc
	s_cbranch_execz .LBB23_81
; %bb.10:
	s_load_dwordx16 s[8:23], s[4:5], 0x8
	v_lshlrev_b32_e32 v1, 2, v1
	v_lshlrev_b32_e32 v0, 5, v0
	v_and_b32_e32 v0, 0x1800, v0
	v_or_b32_e32 v20, 0x2000, v0
	s_waitcnt lgkmcnt(0)
	global_load_dword v7, v1, s[18:19]
	v_mov_b32_e32 v9, s9
	v_mov_b32_e32 v12, s15
	s_waitcnt vmcnt(0)
	v_ashrrev_i32_e32 v8, 31, v7
	v_lshlrev_b64 v[1:2], 2, v[7:8]
	v_add_co_u32_e32 v8, vcc, s8, v1
	v_addc_co_u32_e32 v9, vcc, v9, v2, vcc
	global_load_dwordx2 v[9:10], v[8:9], off
	v_add_co_u32_e32 v11, vcc, s14, v1
	v_addc_co_u32_e32 v12, vcc, v12, v2, vcc
	global_load_dword v8, v[11:12], off
	s_waitcnt vmcnt(1)
	v_subrev_u32_e32 v9, s34, v9
	v_subrev_u32_e32 v12, s34, v10
	v_add_u32_e32 v10, v9, v18
	v_cmp_lt_i32_e32 vcc, v10, v12
	s_and_saveexec_b64 s[0:1], vcc
	s_cbranch_execz .LBB23_33
; %bb.11:
	s_mov_b64 s[6:7], 0
	v_mov_b32_e32 v13, s11
	s_movk_i32 s33, 0x67
	v_mov_b32_e32 v14, -1
	s_branch .LBB23_13
.LBB23_12:                              ;   in Loop: Header=BB23_13 Depth=1
	s_or_b64 exec, exec, s[18:19]
	v_add_u32_e32 v10, 64, v10
	v_cmp_ge_i32_e32 vcc, v10, v12
	s_or_b64 s[6:7], vcc, s[6:7]
	s_andn2_b64 exec, exec, s[6:7]
	s_cbranch_execz .LBB23_33
.LBB23_13:                              ; =>This Loop Header: Depth=1
                                        ;     Child Loop BB23_22 Depth 2
	v_ashrrev_i32_e32 v11, 31, v10
	v_lshlrev_b64 v[15:16], 2, v[10:11]
	s_mov_b64 s[26:27], 0
	v_add_co_u32_e32 v15, vcc, s10, v15
	v_addc_co_u32_e32 v16, vcc, v13, v16, vcc
	global_load_dword v11, v[15:16], off
	v_mov_b32_e32 v15, 0x200
                                        ; implicit-def: $sgpr18_sgpr19
                                        ; implicit-def: $sgpr28_sgpr29
                                        ; implicit-def: $sgpr30_sgpr31
	s_waitcnt vmcnt(0)
	v_mul_lo_u32 v17, v11, s33
	s_branch .LBB23_22
.LBB23_14:                              ;   in Loop: Header=BB23_22 Depth=2
	s_or_b64 exec, exec, s[54:55]
	s_orn2_b64 s[50:51], s[50:51], exec
	s_orn2_b64 s[52:53], s[52:53], exec
.LBB23_15:                              ;   in Loop: Header=BB23_22 Depth=2
	s_or_b64 exec, exec, s[48:49]
	s_and_b64 s[50:51], s[50:51], exec
	s_orn2_b64 s[48:49], s[52:53], exec
.LBB23_16:                              ;   in Loop: Header=BB23_22 Depth=2
	s_or_b64 exec, exec, s[46:47]
	s_orn2_b64 s[50:51], s[50:51], exec
	s_orn2_b64 s[46:47], s[48:49], exec
.LBB23_17:                              ;   in Loop: Header=BB23_22 Depth=2
	s_or_b64 exec, exec, s[44:45]
	s_and_b64 s[48:49], s[50:51], exec
	s_orn2_b64 s[44:45], s[46:47], exec
.LBB23_18:                              ;   in Loop: Header=BB23_22 Depth=2
	s_or_b64 exec, exec, s[42:43]
	s_orn2_b64 s[42:43], s[48:49], exec
	s_orn2_b64 s[44:45], s[44:45], exec
.LBB23_19:                              ;   in Loop: Header=BB23_22 Depth=2
	s_or_b64 exec, exec, s[40:41]
	s_and_b64 s[42:43], s[42:43], exec
	s_orn2_b64 s[40:41], s[44:45], exec
.LBB23_20:                              ;   in Loop: Header=BB23_22 Depth=2
	s_or_b64 exec, exec, s[38:39]
	s_andn2_b64 s[30:31], s[30:31], exec
	s_and_b64 s[38:39], s[42:43], exec
	s_or_b64 s[30:31], s[30:31], s[38:39]
	s_andn2_b64 s[28:29], s[28:29], exec
	s_and_b64 s[38:39], s[40:41], exec
	s_or_b64 s[28:29], s[28:29], s[38:39]
.LBB23_21:                              ;   in Loop: Header=BB23_22 Depth=2
	s_or_b64 exec, exec, s[36:37]
	s_and_b64 s[36:37], exec, s[28:29]
	s_or_b64 s[26:27], s[36:37], s[26:27]
	s_andn2_b64 s[18:19], s[18:19], exec
	s_and_b64 s[36:37], s[30:31], exec
	s_or_b64 s[18:19], s[18:19], s[36:37]
	s_andn2_b64 exec, exec, s[26:27]
	s_cbranch_execz .LBB23_31
.LBB23_22:                              ;   Parent Loop BB23_13 Depth=1
                                        ; =>  This Inner Loop Header: Depth=2
	v_and_b32_e32 v16, 0x1ff, v17
	v_lshl_add_u32 v21, v16, 2, v20
	ds_read_b32 v22, v21
	s_or_b64 s[30:31], s[30:31], exec
	s_or_b64 s[28:29], s[28:29], exec
	s_waitcnt lgkmcnt(0)
	v_cmp_ne_u32_e32 vcc, v22, v11
	s_and_saveexec_b64 s[36:37], vcc
	s_cbranch_execz .LBB23_21
; %bb.23:                               ;   in Loop: Header=BB23_22 Depth=2
	ds_cmpst_rtn_b32 v21, v21, v14, v11
	s_mov_b64 s[40:41], -1
	s_mov_b64 s[42:43], 0
	s_waitcnt lgkmcnt(0)
	v_cmp_ne_u32_e32 vcc, -1, v21
	s_and_saveexec_b64 s[38:39], vcc
	s_cbranch_execz .LBB23_20
; %bb.24:                               ;   in Loop: Header=BB23_22 Depth=2
	v_add_u32_e32 v16, 1, v17
	v_and_b32_e32 v16, 0x1ff, v16
	v_lshl_add_u32 v21, v16, 2, v20
	ds_read_b32 v22, v21
	s_mov_b64 s[44:45], -1
	s_mov_b64 s[42:43], -1
	s_waitcnt lgkmcnt(0)
	v_cmp_ne_u32_e32 vcc, v22, v11
	s_and_saveexec_b64 s[40:41], vcc
	s_cbranch_execz .LBB23_19
; %bb.25:                               ;   in Loop: Header=BB23_22 Depth=2
	ds_cmpst_rtn_b32 v21, v21, v14, v11
	s_mov_b64 s[48:49], 0
	s_waitcnt lgkmcnt(0)
	v_cmp_ne_u32_e32 vcc, -1, v21
	s_and_saveexec_b64 s[42:43], vcc
	s_cbranch_execz .LBB23_18
; %bb.26:                               ;   in Loop: Header=BB23_22 Depth=2
	v_add_u32_e32 v16, 2, v17
	v_and_b32_e32 v16, 0x1ff, v16
	v_lshl_add_u32 v21, v16, 2, v20
	ds_read_b32 v22, v21
	s_mov_b64 s[46:47], -1
	s_mov_b64 s[50:51], -1
	s_waitcnt lgkmcnt(0)
	v_cmp_ne_u32_e32 vcc, v22, v11
	s_and_saveexec_b64 s[44:45], vcc
	s_cbranch_execz .LBB23_17
; %bb.27:                               ;   in Loop: Header=BB23_22 Depth=2
	ds_cmpst_rtn_b32 v21, v21, v14, v11
	s_mov_b64 s[48:49], -1
	s_mov_b64 s[50:51], 0
	s_waitcnt lgkmcnt(0)
	v_cmp_ne_u32_e32 vcc, -1, v21
	s_and_saveexec_b64 s[46:47], vcc
	s_cbranch_execz .LBB23_16
; %bb.28:                               ;   in Loop: Header=BB23_22 Depth=2
	v_add_u32_e32 v16, 3, v17
	v_and_b32_e32 v16, 0x1ff, v16
	v_lshl_add_u32 v21, v16, 2, v20
	ds_read_b32 v17, v21
	s_mov_b64 s[52:53], -1
	s_mov_b64 s[50:51], -1
	s_waitcnt lgkmcnt(0)
	v_cmp_ne_u32_e32 vcc, v17, v11
                                        ; implicit-def: $vgpr17
	s_and_saveexec_b64 s[48:49], vcc
	s_cbranch_execz .LBB23_15
; %bb.29:                               ;   in Loop: Header=BB23_22 Depth=2
	ds_cmpst_rtn_b32 v17, v21, v14, v11
	s_mov_b64 s[50:51], 0
	s_waitcnt lgkmcnt(0)
	v_cmp_ne_u32_e32 vcc, -1, v17
                                        ; implicit-def: $vgpr17
	s_and_saveexec_b64 s[54:55], vcc
	s_cbranch_execz .LBB23_14
; %bb.30:                               ;   in Loop: Header=BB23_22 Depth=2
	v_add_u32_e32 v15, -4, v15
	v_cmp_eq_u32_e32 vcc, 0, v15
	s_mov_b64 s[50:51], exec
	v_add_u32_e32 v17, 1, v16
	s_orn2_b64 s[52:53], vcc, exec
	s_branch .LBB23_14
.LBB23_31:                              ;   in Loop: Header=BB23_13 Depth=1
	s_or_b64 exec, exec, s[26:27]
	s_xor_b64 s[18:19], s[18:19], -1
	s_and_saveexec_b64 s[26:27], s[18:19]
	s_xor_b64 s[18:19], exec, s[26:27]
	s_cbranch_execz .LBB23_12
; %bb.32:                               ;   in Loop: Header=BB23_13 Depth=1
	v_lshl_add_u32 v11, v16, 2, v0
	ds_write_b32 v11, v10
	s_branch .LBB23_12
.LBB23_33:
	s_or_b64 exec, exec, s[0:1]
	s_waitcnt vmcnt(0)
	v_cmp_lt_i32_e32 vcc, v9, v8
	s_waitcnt lgkmcnt(0)
	s_and_saveexec_b64 s[0:1], vcc
	s_cbranch_execz .LBB23_63
; %bb.34:
	v_add_u32_e32 v21, 1, v18
	s_mov_b64 s[6:7], 0
	v_mov_b32_e32 v22, s11
	v_mov_b32_e32 v23, s13
	;; [unrolled: 1-line block ×5, first 2 shown]
	s_movk_i32 s9, 0x67
	s_branch .LBB23_37
.LBB23_35:                              ;   in Loop: Header=BB23_37 Depth=1
	s_or_b64 exec, exec, s[26:27]
	v_add_u32_e32 v9, 1, v9
	v_cmp_ge_i32_e32 vcc, v9, v8
	s_orn2_b64 s[26:27], vcc, exec
.LBB23_36:                              ;   in Loop: Header=BB23_37 Depth=1
	s_or_b64 exec, exec, s[18:19]
	s_and_b64 s[18:19], exec, s[26:27]
	s_or_b64 s[6:7], s[18:19], s[6:7]
	s_andn2_b64 exec, exec, s[6:7]
	s_cbranch_execz .LBB23_63
.LBB23_37:                              ; =>This Loop Header: Depth=1
                                        ;     Child Loop BB23_38 Depth 2
                                        ;     Child Loop BB23_43 Depth 2
                                        ;       Child Loop BB23_52 Depth 3
	v_ashrrev_i32_e32 v10, 31, v9
	v_lshlrev_b64 v[11:12], 2, v[9:10]
	s_mov_b64 s[18:19], 0
	v_add_co_u32_e32 v11, vcc, s10, v11
	v_addc_co_u32_e32 v12, vcc, v22, v12, vcc
	global_load_dword v12, v[11:12], off
	v_lshlrev_b64 v[10:11], 3, v[9:10]
	v_add_co_u32_e32 v13, vcc, s12, v10
	v_addc_co_u32_e32 v14, vcc, v23, v11, vcc
	global_load_dwordx2 v[10:11], v[13:14], off
	s_waitcnt vmcnt(1)
	v_subrev_u32_e32 v15, s34, v12
	v_ashrrev_i32_e32 v16, 31, v15
	v_lshlrev_b64 v[15:16], 2, v[15:16]
	v_add_co_u32_e32 v27, vcc, s8, v15
	v_addc_co_u32_e32 v28, vcc, v24, v16, vcc
	v_add_co_u32_e32 v29, vcc, s14, v15
	v_addc_co_u32_e32 v30, vcc, v25, v16, vcc
	global_load_dword v12, v[27:28], off offset:4
	global_load_dword v17, v[29:30], off
	v_add_co_u32_e32 v15, vcc, s16, v15
	v_addc_co_u32_e32 v16, vcc, v26, v16, vcc
.LBB23_38:                              ;   Parent Loop BB23_37 Depth=1
                                        ; =>  This Inner Loop Header: Depth=2
	global_load_dword v27, v[15:16], off glc
	s_waitcnt vmcnt(0)
	v_cmp_ne_u32_e32 vcc, 0, v27
	s_or_b64 s[18:19], vcc, s[18:19]
	s_andn2_b64 exec, exec, s[18:19]
	s_cbranch_execnz .LBB23_38
; %bb.39:                               ;   in Loop: Header=BB23_37 Depth=1
	s_or_b64 exec, exec, s[18:19]
	v_subrev_u32_e32 v27, s34, v12
	v_add_u32_e32 v12, -1, v27
	v_cmp_eq_u32_e32 vcc, -1, v17
	v_cndmask_b32_e32 v15, v17, v12, vcc
	v_ashrrev_i32_e32 v16, 31, v15
	v_lshlrev_b64 v[16:17], 3, v[15:16]
	buffer_wbinvl1_vol
	v_add_co_u32_e32 v16, vcc, s12, v16
	v_addc_co_u32_e32 v17, vcc, v23, v17, vcc
	global_load_dwordx2 v[16:17], v[16:17], off
	s_mov_b64 s[26:27], -1
	s_waitcnt vmcnt(0)
	v_cmp_neq_f64_e32 vcc, 0, v[16:17]
	s_and_saveexec_b64 s[18:19], vcc
	s_cbranch_execz .LBB23_36
; %bb.40:                               ;   in Loop: Header=BB23_37 Depth=1
	v_div_scale_f64 v[28:29], s[26:27], v[16:17], v[16:17], v[10:11]
	v_add_u32_e32 v12, v21, v15
	v_rcp_f64_e32 v[30:31], v[28:29]
	v_fma_f64 v[32:33], -v[28:29], v[30:31], 1.0
	v_fma_f64 v[30:31], v[30:31], v[32:33], v[30:31]
	v_div_scale_f64 v[32:33], vcc, v[10:11], v[16:17], v[10:11]
	v_fma_f64 v[34:35], -v[28:29], v[30:31], 1.0
	v_fma_f64 v[30:31], v[30:31], v[34:35], v[30:31]
	v_mul_f64 v[34:35], v[32:33], v[30:31]
	v_fma_f64 v[28:29], -v[28:29], v[34:35], v[32:33]
	v_div_fmas_f64 v[28:29], v[28:29], v[30:31], v[34:35]
	v_cmp_lt_i32_e32 vcc, v12, v27
	v_div_fixup_f64 v[10:11], v[28:29], v[16:17], v[10:11]
	global_store_dwordx2 v[13:14], v[10:11], off
	s_and_saveexec_b64 s[26:27], vcc
	s_cbranch_execz .LBB23_35
; %bb.41:                               ;   in Loop: Header=BB23_37 Depth=1
	s_mov_b64 s[28:29], 0
	s_branch .LBB23_43
.LBB23_42:                              ;   in Loop: Header=BB23_43 Depth=2
	s_or_b64 exec, exec, s[30:31]
	v_add_u32_e32 v12, 64, v12
	v_cmp_ge_i32_e32 vcc, v12, v27
	s_or_b64 s[28:29], vcc, s[28:29]
	s_andn2_b64 exec, exec, s[28:29]
	s_cbranch_execz .LBB23_35
.LBB23_43:                              ;   Parent Loop BB23_37 Depth=1
                                        ; =>  This Loop Header: Depth=2
                                        ;       Child Loop BB23_52 Depth 3
	v_ashrrev_i32_e32 v13, 31, v12
	v_lshlrev_b64 v[14:15], 2, v[12:13]
	s_mov_b64 s[36:37], 0
	v_add_co_u32_e32 v14, vcc, s10, v14
	v_addc_co_u32_e32 v15, vcc, v22, v15, vcc
	global_load_dword v14, v[14:15], off
	v_mov_b32_e32 v15, 0x200
                                        ; implicit-def: $sgpr30_sgpr31
                                        ; implicit-def: $sgpr38_sgpr39
                                        ; implicit-def: $sgpr40_sgpr41
	s_waitcnt vmcnt(0)
	v_mul_lo_u32 v17, v14, s9
	s_branch .LBB23_52
.LBB23_44:                              ;   in Loop: Header=BB23_52 Depth=3
	s_or_b64 exec, exec, s[60:61]
	s_orn2_b64 s[56:57], s[56:57], exec
	s_orn2_b64 s[58:59], s[58:59], exec
.LBB23_45:                              ;   in Loop: Header=BB23_52 Depth=3
	s_or_b64 exec, exec, s[54:55]
	s_and_b64 s[56:57], s[56:57], exec
	s_orn2_b64 s[54:55], s[58:59], exec
.LBB23_46:                              ;   in Loop: Header=BB23_52 Depth=3
	s_or_b64 exec, exec, s[52:53]
	s_orn2_b64 s[56:57], s[56:57], exec
	s_orn2_b64 s[52:53], s[54:55], exec
.LBB23_47:                              ;   in Loop: Header=BB23_52 Depth=3
	s_or_b64 exec, exec, s[50:51]
	s_and_b64 s[54:55], s[56:57], exec
	s_orn2_b64 s[50:51], s[52:53], exec
.LBB23_48:                              ;   in Loop: Header=BB23_52 Depth=3
	s_or_b64 exec, exec, s[48:49]
	s_orn2_b64 s[48:49], s[54:55], exec
	s_orn2_b64 s[50:51], s[50:51], exec
.LBB23_49:                              ;   in Loop: Header=BB23_52 Depth=3
	s_or_b64 exec, exec, s[46:47]
	s_and_b64 s[48:49], s[48:49], exec
	s_orn2_b64 s[46:47], s[50:51], exec
.LBB23_50:                              ;   in Loop: Header=BB23_52 Depth=3
	s_or_b64 exec, exec, s[44:45]
	s_andn2_b64 s[40:41], s[40:41], exec
	s_and_b64 s[44:45], s[48:49], exec
	s_or_b64 s[40:41], s[40:41], s[44:45]
	s_andn2_b64 s[38:39], s[38:39], exec
	s_and_b64 s[44:45], s[46:47], exec
	s_or_b64 s[38:39], s[38:39], s[44:45]
.LBB23_51:                              ;   in Loop: Header=BB23_52 Depth=3
	s_or_b64 exec, exec, s[42:43]
	s_and_b64 s[42:43], exec, s[38:39]
	s_or_b64 s[36:37], s[42:43], s[36:37]
	s_andn2_b64 s[30:31], s[30:31], exec
	s_and_b64 s[42:43], s[40:41], exec
	s_or_b64 s[30:31], s[30:31], s[42:43]
	s_andn2_b64 exec, exec, s[36:37]
	s_cbranch_execz .LBB23_61
.LBB23_52:                              ;   Parent Loop BB23_37 Depth=1
                                        ;     Parent Loop BB23_43 Depth=2
                                        ; =>    This Inner Loop Header: Depth=3
	v_and_b32_e32 v16, 0x1ff, v17
	v_lshl_add_u32 v28, v16, 2, v20
	ds_read_b32 v28, v28
	s_or_b64 s[40:41], s[40:41], exec
	s_or_b64 s[38:39], s[38:39], exec
	s_waitcnt lgkmcnt(0)
	v_cmp_ne_u32_e32 vcc, -1, v28
	s_and_saveexec_b64 s[42:43], vcc
	s_cbranch_execz .LBB23_51
; %bb.53:                               ;   in Loop: Header=BB23_52 Depth=3
	v_cmp_ne_u32_e32 vcc, v28, v14
	s_mov_b64 s[46:47], -1
	s_mov_b64 s[48:49], 0
	s_and_saveexec_b64 s[44:45], vcc
	s_cbranch_execz .LBB23_50
; %bb.54:                               ;   in Loop: Header=BB23_52 Depth=3
	v_add_u32_e32 v16, 1, v17
	v_and_b32_e32 v16, 0x1ff, v16
	v_lshl_add_u32 v28, v16, 2, v20
	ds_read_b32 v28, v28
	s_mov_b64 s[50:51], -1
	s_mov_b64 s[48:49], -1
	s_waitcnt lgkmcnt(0)
	v_cmp_ne_u32_e32 vcc, -1, v28
	s_and_saveexec_b64 s[46:47], vcc
	s_cbranch_execz .LBB23_49
; %bb.55:                               ;   in Loop: Header=BB23_52 Depth=3
	v_cmp_ne_u32_e32 vcc, v28, v14
	s_mov_b64 s[54:55], 0
	s_and_saveexec_b64 s[48:49], vcc
	s_cbranch_execz .LBB23_48
; %bb.56:                               ;   in Loop: Header=BB23_52 Depth=3
	v_add_u32_e32 v16, 2, v17
	v_and_b32_e32 v16, 0x1ff, v16
	v_lshl_add_u32 v28, v16, 2, v20
	ds_read_b32 v28, v28
	s_mov_b64 s[52:53], -1
	s_mov_b64 s[56:57], -1
	s_waitcnt lgkmcnt(0)
	v_cmp_ne_u32_e32 vcc, -1, v28
	s_and_saveexec_b64 s[50:51], vcc
	s_cbranch_execz .LBB23_47
; %bb.57:                               ;   in Loop: Header=BB23_52 Depth=3
	v_cmp_ne_u32_e32 vcc, v28, v14
	s_mov_b64 s[54:55], -1
	s_mov_b64 s[56:57], 0
	s_and_saveexec_b64 s[52:53], vcc
	s_cbranch_execz .LBB23_46
; %bb.58:                               ;   in Loop: Header=BB23_52 Depth=3
	v_add_u32_e32 v16, 3, v17
	v_and_b32_e32 v16, 0x1ff, v16
	v_lshl_add_u32 v17, v16, 2, v20
	ds_read_b32 v28, v17
	s_mov_b64 s[58:59], -1
	s_mov_b64 s[56:57], -1
                                        ; implicit-def: $vgpr17
	s_waitcnt lgkmcnt(0)
	v_cmp_ne_u32_e32 vcc, -1, v28
	s_and_saveexec_b64 s[54:55], vcc
	s_cbranch_execz .LBB23_45
; %bb.59:                               ;   in Loop: Header=BB23_52 Depth=3
	v_cmp_ne_u32_e32 vcc, v28, v14
	s_mov_b64 s[56:57], 0
                                        ; implicit-def: $vgpr17
	s_and_saveexec_b64 s[60:61], vcc
	s_cbranch_execz .LBB23_44
; %bb.60:                               ;   in Loop: Header=BB23_52 Depth=3
	v_add_u32_e32 v15, -4, v15
	v_cmp_eq_u32_e32 vcc, 0, v15
	s_mov_b64 s[56:57], exec
	v_add_u32_e32 v17, 1, v16
	s_orn2_b64 s[58:59], vcc, exec
	s_branch .LBB23_44
.LBB23_61:                              ;   in Loop: Header=BB23_43 Depth=2
	s_or_b64 exec, exec, s[36:37]
	s_xor_b64 s[30:31], s[30:31], -1
	s_and_saveexec_b64 s[36:37], s[30:31]
	s_xor_b64 s[30:31], exec, s[36:37]
	s_cbranch_execz .LBB23_42
; %bb.62:                               ;   in Loop: Header=BB23_43 Depth=2
	v_lshl_add_u32 v14, v16, 2, v0
	ds_read_b32 v14, v14
	v_lshlrev_b64 v[16:17], 3, v[12:13]
	v_add_co_u32_e32 v16, vcc, s12, v16
	s_waitcnt lgkmcnt(0)
	v_ashrrev_i32_e32 v15, 31, v14
	v_lshlrev_b64 v[13:14], 3, v[14:15]
	v_addc_co_u32_e32 v17, vcc, v23, v17, vcc
	v_add_co_u32_e32 v13, vcc, s12, v13
	v_addc_co_u32_e32 v14, vcc, v23, v14, vcc
	global_load_dwordx2 v[28:29], v[16:17], off
	global_load_dwordx2 v[30:31], v[13:14], off
	s_waitcnt vmcnt(0)
	v_fma_f64 v[15:16], -v[10:11], v[28:29], v[30:31]
	global_store_dwordx2 v[13:14], v[15:16], off
	s_branch .LBB23_42
.LBB23_63:
	s_or_b64 exec, exec, s[0:1]
	v_cmp_lt_i32_e32 vcc, -1, v8
	s_and_saveexec_b64 s[6:7], vcc
	s_cbranch_execz .LBB23_79
; %bb.64:
	v_mov_b32_e32 v9, 0
	v_lshlrev_b64 v[8:9], 3, v[8:9]
	v_mov_b32_e32 v0, s13
	v_add_co_u32_e32 v10, vcc, s12, v8
	v_addc_co_u32_e32 v11, vcc, v0, v9, vcc
	global_load_dwordx2 v[8:9], v[10:11], off
	s_andn2_b64 vcc, exec, s[2:3]
	v_cmp_eq_u32_e64 s[0:1], 0, v18
	s_waitcnt vmcnt(0)
	v_cmp_gt_f64_e64 s[2:3], 0, v[8:9]
	v_xor_b32_e32 v0, 0x80000000, v9
	v_mov_b32_e32 v12, v8
	v_cndmask_b32_e64 v13, v9, v0, s[2:3]
	s_mov_b64 s[2:3], -1
	s_cbranch_vccnz .LBB23_68
; %bb.65:
	v_cvt_f64_f32_e32 v[14:15], v19
	s_cmp_eq_u64 s[24:25], 8
	s_cselect_b64 vcc, -1, 0
	v_cndmask_b32_e32 v4, v15, v4, vcc
	v_cndmask_b32_e32 v3, v14, v3, vcc
	v_cmp_le_f64_e32 vcc, v[12:13], v[3:4]
	s_and_b64 s[8:9], s[0:1], vcc
	s_and_saveexec_b64 s[2:3], s[8:9]
	s_cbranch_execz .LBB23_67
; %bb.66:
	global_store_dwordx2 v[10:11], v[5:6], off
	s_waitcnt vmcnt(0)
	buffer_wbinvl1_vol
.LBB23_67:
	s_or_b64 exec, exec, s[2:3]
	s_mov_b64 s[2:3], 0
.LBB23_68:
	s_andn2_b64 vcc, exec, s[2:3]
	s_cbranch_vccnz .LBB23_79
; %bb.69:
	s_load_dwordx2 s[2:3], s[4:5], 0x48
	v_add_u32_e32 v0, s34, v7
	s_waitcnt lgkmcnt(0)
	v_cmp_ge_f64_e32 vcc, s[2:3], v[12:13]
	s_and_b64 s[4:5], s[0:1], vcc
	s_and_saveexec_b64 s[2:3], s[4:5]
	s_cbranch_execz .LBB23_74
; %bb.70:
	s_mov_b64 s[4:5], exec
	s_brev_b32 s8, -2
.LBB23_71:                              ; =>This Inner Loop Header: Depth=1
	s_ff1_i32_b64 s9, s[4:5]
	v_readlane_b32 s12, v0, s9
	s_lshl_b64 s[10:11], 1, s9
	s_min_i32 s8, s8, s12
	s_andn2_b64 s[4:5], s[4:5], s[10:11]
	s_cmp_lg_u64 s[4:5], 0
	s_cbranch_scc1 .LBB23_71
; %bb.72:
	v_mbcnt_lo_u32_b32 v3, exec_lo, 0
	v_mbcnt_hi_u32_b32 v3, exec_hi, v3
	v_cmp_eq_u32_e32 vcc, 0, v3
	s_and_saveexec_b64 s[4:5], vcc
	s_xor_b64 s[4:5], exec, s[4:5]
	s_cbranch_execz .LBB23_74
; %bb.73:
	v_mov_b32_e32 v3, 0
	v_mov_b32_e32 v4, s8
	global_atomic_smin v3, v4, s[22:23]
.LBB23_74:
	s_or_b64 exec, exec, s[2:3]
	v_cmp_eq_f64_e32 vcc, 0, v[8:9]
	s_and_b64 s[0:1], s[0:1], vcc
	s_and_b64 exec, exec, s[0:1]
	s_cbranch_execz .LBB23_79
; %bb.75:
	s_mov_b64 s[0:1], exec
	s_brev_b32 s2, -2
.LBB23_76:                              ; =>This Inner Loop Header: Depth=1
	s_ff1_i32_b64 s3, s[0:1]
	v_readlane_b32 s8, v0, s3
	s_lshl_b64 s[4:5], 1, s3
	s_min_i32 s2, s2, s8
	s_andn2_b64 s[0:1], s[0:1], s[4:5]
	s_cmp_lg_u64 s[0:1], 0
	s_cbranch_scc1 .LBB23_76
; %bb.77:
	v_mbcnt_lo_u32_b32 v0, exec_lo, 0
	v_mbcnt_hi_u32_b32 v0, exec_hi, v0
	v_cmp_eq_u32_e32 vcc, 0, v0
	s_and_saveexec_b64 s[0:1], vcc
	s_xor_b64 s[0:1], exec, s[0:1]
	s_cbranch_execz .LBB23_79
; %bb.78:
	v_mov_b32_e32 v0, 0
	v_mov_b32_e32 v3, s2
	global_atomic_smin v0, v3, s[20:21]
.LBB23_79:
	s_or_b64 exec, exec, s[6:7]
	v_cmp_eq_u32_e32 vcc, 0, v18
	s_waitcnt vmcnt(0)
	buffer_wbinvl1_vol
	s_and_b64 exec, exec, vcc
	s_cbranch_execz .LBB23_81
; %bb.80:
	v_mov_b32_e32 v3, s17
	v_add_co_u32_e32 v0, vcc, s16, v1
	v_addc_co_u32_e32 v1, vcc, v3, v2, vcc
	v_mov_b32_e32 v2, 1
	global_store_dword v[0:1], v2, off
.LBB23_81:
	s_endpgm
	.section	.rodata,"a",@progbits
	.p2align	6, 0x0
	.amdhsa_kernel _ZN9rocsparseL12csrilu0_hashILj256ELj64ELj8EdEEviPKiS2_PT2_S2_PiS2_S5_S5_d21rocsparse_index_base_imNS_24const_host_device_scalarIfEENS7_IdEENS7_IS3_EEb
		.amdhsa_group_segment_fixed_size 16384
		.amdhsa_private_segment_fixed_size 0
		.amdhsa_kernarg_size 124
		.amdhsa_user_sgpr_count 6
		.amdhsa_user_sgpr_private_segment_buffer 1
		.amdhsa_user_sgpr_dispatch_ptr 0
		.amdhsa_user_sgpr_queue_ptr 0
		.amdhsa_user_sgpr_kernarg_segment_ptr 1
		.amdhsa_user_sgpr_dispatch_id 0
		.amdhsa_user_sgpr_flat_scratch_init 0
		.amdhsa_user_sgpr_private_segment_size 0
		.amdhsa_uses_dynamic_stack 0
		.amdhsa_system_sgpr_private_segment_wavefront_offset 0
		.amdhsa_system_sgpr_workgroup_id_x 1
		.amdhsa_system_sgpr_workgroup_id_y 0
		.amdhsa_system_sgpr_workgroup_id_z 0
		.amdhsa_system_sgpr_workgroup_info 0
		.amdhsa_system_vgpr_workitem_id 0
		.amdhsa_next_free_vgpr 49
		.amdhsa_next_free_sgpr 98
		.amdhsa_reserve_vcc 1
		.amdhsa_reserve_flat_scratch 0
		.amdhsa_float_round_mode_32 0
		.amdhsa_float_round_mode_16_64 0
		.amdhsa_float_denorm_mode_32 3
		.amdhsa_float_denorm_mode_16_64 3
		.amdhsa_dx10_clamp 1
		.amdhsa_ieee_mode 1
		.amdhsa_fp16_overflow 0
		.amdhsa_exception_fp_ieee_invalid_op 0
		.amdhsa_exception_fp_denorm_src 0
		.amdhsa_exception_fp_ieee_div_zero 0
		.amdhsa_exception_fp_ieee_overflow 0
		.amdhsa_exception_fp_ieee_underflow 0
		.amdhsa_exception_fp_ieee_inexact 0
		.amdhsa_exception_int_div_zero 0
	.end_amdhsa_kernel
	.section	.text._ZN9rocsparseL12csrilu0_hashILj256ELj64ELj8EdEEviPKiS2_PT2_S2_PiS2_S5_S5_d21rocsparse_index_base_imNS_24const_host_device_scalarIfEENS7_IdEENS7_IS3_EEb,"axG",@progbits,_ZN9rocsparseL12csrilu0_hashILj256ELj64ELj8EdEEviPKiS2_PT2_S2_PiS2_S5_S5_d21rocsparse_index_base_imNS_24const_host_device_scalarIfEENS7_IdEENS7_IS3_EEb,comdat
.Lfunc_end23:
	.size	_ZN9rocsparseL12csrilu0_hashILj256ELj64ELj8EdEEviPKiS2_PT2_S2_PiS2_S5_S5_d21rocsparse_index_base_imNS_24const_host_device_scalarIfEENS7_IdEENS7_IS3_EEb, .Lfunc_end23-_ZN9rocsparseL12csrilu0_hashILj256ELj64ELj8EdEEviPKiS2_PT2_S2_PiS2_S5_S5_d21rocsparse_index_base_imNS_24const_host_device_scalarIfEENS7_IdEENS7_IS3_EEb
                                        ; -- End function
	.set _ZN9rocsparseL12csrilu0_hashILj256ELj64ELj8EdEEviPKiS2_PT2_S2_PiS2_S5_S5_d21rocsparse_index_base_imNS_24const_host_device_scalarIfEENS7_IdEENS7_IS3_EEb.num_vgpr, 36
	.set _ZN9rocsparseL12csrilu0_hashILj256ELj64ELj8EdEEviPKiS2_PT2_S2_PiS2_S5_S5_d21rocsparse_index_base_imNS_24const_host_device_scalarIfEENS7_IdEENS7_IS3_EEb.num_agpr, 0
	.set _ZN9rocsparseL12csrilu0_hashILj256ELj64ELj8EdEEviPKiS2_PT2_S2_PiS2_S5_S5_d21rocsparse_index_base_imNS_24const_host_device_scalarIfEENS7_IdEENS7_IS3_EEb.numbered_sgpr, 62
	.set _ZN9rocsparseL12csrilu0_hashILj256ELj64ELj8EdEEviPKiS2_PT2_S2_PiS2_S5_S5_d21rocsparse_index_base_imNS_24const_host_device_scalarIfEENS7_IdEENS7_IS3_EEb.num_named_barrier, 0
	.set _ZN9rocsparseL12csrilu0_hashILj256ELj64ELj8EdEEviPKiS2_PT2_S2_PiS2_S5_S5_d21rocsparse_index_base_imNS_24const_host_device_scalarIfEENS7_IdEENS7_IS3_EEb.private_seg_size, 0
	.set _ZN9rocsparseL12csrilu0_hashILj256ELj64ELj8EdEEviPKiS2_PT2_S2_PiS2_S5_S5_d21rocsparse_index_base_imNS_24const_host_device_scalarIfEENS7_IdEENS7_IS3_EEb.uses_vcc, 1
	.set _ZN9rocsparseL12csrilu0_hashILj256ELj64ELj8EdEEviPKiS2_PT2_S2_PiS2_S5_S5_d21rocsparse_index_base_imNS_24const_host_device_scalarIfEENS7_IdEENS7_IS3_EEb.uses_flat_scratch, 0
	.set _ZN9rocsparseL12csrilu0_hashILj256ELj64ELj8EdEEviPKiS2_PT2_S2_PiS2_S5_S5_d21rocsparse_index_base_imNS_24const_host_device_scalarIfEENS7_IdEENS7_IS3_EEb.has_dyn_sized_stack, 0
	.set _ZN9rocsparseL12csrilu0_hashILj256ELj64ELj8EdEEviPKiS2_PT2_S2_PiS2_S5_S5_d21rocsparse_index_base_imNS_24const_host_device_scalarIfEENS7_IdEENS7_IS3_EEb.has_recursion, 0
	.set _ZN9rocsparseL12csrilu0_hashILj256ELj64ELj8EdEEviPKiS2_PT2_S2_PiS2_S5_S5_d21rocsparse_index_base_imNS_24const_host_device_scalarIfEENS7_IdEENS7_IS3_EEb.has_indirect_call, 0
	.section	.AMDGPU.csdata,"",@progbits
; Kernel info:
; codeLenInByte = 2600
; TotalNumSgprs: 66
; NumVgprs: 36
; ScratchSize: 0
; MemoryBound: 0
; FloatMode: 240
; IeeeMode: 1
; LDSByteSize: 16384 bytes/workgroup (compile time only)
; SGPRBlocks: 12
; VGPRBlocks: 12
; NumSGPRsForWavesPerEU: 102
; NumVGPRsForWavesPerEU: 49
; Occupancy: 4
; WaveLimiterHint : 1
; COMPUTE_PGM_RSRC2:SCRATCH_EN: 0
; COMPUTE_PGM_RSRC2:USER_SGPR: 6
; COMPUTE_PGM_RSRC2:TRAP_HANDLER: 0
; COMPUTE_PGM_RSRC2:TGID_X_EN: 1
; COMPUTE_PGM_RSRC2:TGID_Y_EN: 0
; COMPUTE_PGM_RSRC2:TGID_Z_EN: 0
; COMPUTE_PGM_RSRC2:TIDIG_COMP_CNT: 0
	.section	.text._ZN9rocsparseL12csrilu0_hashILj256ELj64ELj16EdEEviPKiS2_PT2_S2_PiS2_S5_S5_d21rocsparse_index_base_imNS_24const_host_device_scalarIfEENS7_IdEENS7_IS3_EEb,"axG",@progbits,_ZN9rocsparseL12csrilu0_hashILj256ELj64ELj16EdEEviPKiS2_PT2_S2_PiS2_S5_S5_d21rocsparse_index_base_imNS_24const_host_device_scalarIfEENS7_IdEENS7_IS3_EEb,comdat
	.globl	_ZN9rocsparseL12csrilu0_hashILj256ELj64ELj16EdEEviPKiS2_PT2_S2_PiS2_S5_S5_d21rocsparse_index_base_imNS_24const_host_device_scalarIfEENS7_IdEENS7_IS3_EEb ; -- Begin function _ZN9rocsparseL12csrilu0_hashILj256ELj64ELj16EdEEviPKiS2_PT2_S2_PiS2_S5_S5_d21rocsparse_index_base_imNS_24const_host_device_scalarIfEENS7_IdEENS7_IS3_EEb
	.p2align	8
	.type	_ZN9rocsparseL12csrilu0_hashILj256ELj64ELj16EdEEviPKiS2_PT2_S2_PiS2_S5_S5_d21rocsparse_index_base_imNS_24const_host_device_scalarIfEENS7_IdEENS7_IS3_EEb,@function
_ZN9rocsparseL12csrilu0_hashILj256ELj64ELj16EdEEviPKiS2_PT2_S2_PiS2_S5_S5_d21rocsparse_index_base_imNS_24const_host_device_scalarIfEENS7_IdEENS7_IS3_EEb: ; @_ZN9rocsparseL12csrilu0_hashILj256ELj64ELj16EdEEviPKiS2_PT2_S2_PiS2_S5_S5_d21rocsparse_index_base_imNS_24const_host_device_scalarIfEENS7_IdEENS7_IS3_EEb
; %bb.0:
	s_load_dword s0, s[4:5], 0x78
	s_load_dwordx2 s[34:35], s[4:5], 0x50
	s_load_dwordx8 s[24:31], s[4:5], 0x58
	s_waitcnt lgkmcnt(0)
	s_bitcmp1_b32 s0, 0
	s_cselect_b64 s[0:1], -1, 0
	s_cmp_eq_u32 s35, 0
	s_cselect_b64 s[8:9], -1, 0
	s_cmp_lg_u32 s35, 0
	s_cselect_b64 s[2:3], -1, 0
	s_or_b64 s[0:1], s[8:9], s[0:1]
	s_xor_b64 s[10:11], s[0:1], -1
	s_and_b64 s[12:13], s[8:9], exec
	s_cselect_b32 s13, 0, s29
	s_cselect_b32 s12, 0, s28
	s_and_b64 vcc, exec, s[0:1]
	s_cbranch_vccnz .LBB24_2
; %bb.1:
	s_load_dword s0, s[26:27], 0x0
	s_mov_b64 s[12:13], s[28:29]
	s_waitcnt lgkmcnt(0)
	v_mov_b32_e32 v19, s0
	s_branch .LBB24_3
.LBB24_2:
	v_mov_b32_e32 v1, s26
	v_cndmask_b32_e64 v19, v1, 0, s[8:9]
.LBB24_3:
	v_cndmask_b32_e64 v1, 0, 1, s[10:11]
	v_mov_b32_e32 v3, s12
	v_cmp_ne_u32_e64 s[0:1], 1, v1
	s_andn2_b64 vcc, exec, s[10:11]
	v_mov_b32_e32 v4, s13
	s_cbranch_vccnz .LBB24_5
; %bb.4:
	v_mov_b32_e32 v1, s28
	v_mov_b32_e32 v2, s29
	flat_load_dwordx2 v[3:4], v[1:2]
.LBB24_5:
	s_and_b64 s[8:9], s[8:9], exec
	s_cselect_b32 s8, 0, s30
	s_cselect_b32 s9, 0, s31
	v_mov_b32_e32 v5, s8
	s_and_b64 vcc, exec, s[0:1]
	v_mov_b32_e32 v6, s9
	s_cbranch_vccnz .LBB24_7
; %bb.6:
	v_mov_b32_e32 v1, s30
	v_mov_b32_e32 v2, s31
	flat_load_dwordx2 v[5:6], v[1:2]
.LBB24_7:
	v_and_b32_e32 v18, 63, v0
	v_lshrrev_b32_e32 v1, 6, v0
	v_lshlrev_b32_e32 v7, 12, v1
	v_lshlrev_b32_e32 v8, 2, v18
	s_movk_i32 s0, 0x4000
	v_or_b32_e32 v2, 0xffffffc0, v18
	v_or3_b32 v7, v7, v8, s0
	s_mov_b64 s[0:1], 0
	v_mov_b32_e32 v8, -1
	s_movk_i32 s7, 0x3bf
.LBB24_8:                               ; =>This Inner Loop Header: Depth=1
	v_add_u32_e32 v2, 64, v2
	v_cmp_lt_u32_e32 vcc, s7, v2
	ds_write_b32 v7, v8
	s_or_b64 s[0:1], vcc, s[0:1]
	v_add_u32_e32 v7, 0x100, v7
	s_andn2_b64 exec, exec, s[0:1]
	s_cbranch_execnz .LBB24_8
; %bb.9:
	s_or_b64 exec, exec, s[0:1]
	s_load_dword s0, s[4:5], 0x0
	s_lshl_b32 s1, s6, 2
	s_and_b32 s1, s1, 0x3fffffc
	v_or_b32_e32 v1, s1, v1
	s_waitcnt lgkmcnt(0)
	v_cmp_gt_i32_e32 vcc, s0, v1
	s_and_saveexec_b64 s[0:1], vcc
	s_cbranch_execz .LBB24_81
; %bb.10:
	s_load_dwordx16 s[8:23], s[4:5], 0x8
	v_lshlrev_b32_e32 v1, 2, v1
	v_lshlrev_b32_e32 v0, 6, v0
	v_and_b32_e32 v0, 0x3000, v0
	v_or_b32_e32 v20, 0x4000, v0
	s_waitcnt lgkmcnt(0)
	global_load_dword v7, v1, s[18:19]
	v_mov_b32_e32 v9, s9
	v_mov_b32_e32 v12, s15
	s_waitcnt vmcnt(0)
	v_ashrrev_i32_e32 v8, 31, v7
	v_lshlrev_b64 v[1:2], 2, v[7:8]
	v_add_co_u32_e32 v8, vcc, s8, v1
	v_addc_co_u32_e32 v9, vcc, v9, v2, vcc
	global_load_dwordx2 v[9:10], v[8:9], off
	v_add_co_u32_e32 v11, vcc, s14, v1
	v_addc_co_u32_e32 v12, vcc, v12, v2, vcc
	global_load_dword v8, v[11:12], off
	s_waitcnt vmcnt(1)
	v_subrev_u32_e32 v9, s34, v9
	v_subrev_u32_e32 v12, s34, v10
	v_add_u32_e32 v10, v9, v18
	v_cmp_lt_i32_e32 vcc, v10, v12
	s_and_saveexec_b64 s[0:1], vcc
	s_cbranch_execz .LBB24_33
; %bb.11:
	s_mov_b64 s[6:7], 0
	v_mov_b32_e32 v13, s11
	s_movk_i32 s33, 0x67
	v_mov_b32_e32 v14, -1
	s_branch .LBB24_13
.LBB24_12:                              ;   in Loop: Header=BB24_13 Depth=1
	s_or_b64 exec, exec, s[18:19]
	v_add_u32_e32 v10, 64, v10
	v_cmp_ge_i32_e32 vcc, v10, v12
	s_or_b64 s[6:7], vcc, s[6:7]
	s_andn2_b64 exec, exec, s[6:7]
	s_cbranch_execz .LBB24_33
.LBB24_13:                              ; =>This Loop Header: Depth=1
                                        ;     Child Loop BB24_22 Depth 2
	v_ashrrev_i32_e32 v11, 31, v10
	v_lshlrev_b64 v[15:16], 2, v[10:11]
	s_mov_b64 s[26:27], 0
	v_add_co_u32_e32 v15, vcc, s10, v15
	v_addc_co_u32_e32 v16, vcc, v13, v16, vcc
	global_load_dword v11, v[15:16], off
	v_mov_b32_e32 v15, 0x400
                                        ; implicit-def: $sgpr18_sgpr19
                                        ; implicit-def: $sgpr28_sgpr29
                                        ; implicit-def: $sgpr30_sgpr31
	s_waitcnt vmcnt(0)
	v_mul_lo_u32 v17, v11, s33
	s_branch .LBB24_22
.LBB24_14:                              ;   in Loop: Header=BB24_22 Depth=2
	s_or_b64 exec, exec, s[54:55]
	s_orn2_b64 s[50:51], s[50:51], exec
	s_orn2_b64 s[52:53], s[52:53], exec
.LBB24_15:                              ;   in Loop: Header=BB24_22 Depth=2
	s_or_b64 exec, exec, s[48:49]
	s_and_b64 s[50:51], s[50:51], exec
	s_orn2_b64 s[48:49], s[52:53], exec
.LBB24_16:                              ;   in Loop: Header=BB24_22 Depth=2
	s_or_b64 exec, exec, s[46:47]
	s_orn2_b64 s[50:51], s[50:51], exec
	s_orn2_b64 s[46:47], s[48:49], exec
.LBB24_17:                              ;   in Loop: Header=BB24_22 Depth=2
	s_or_b64 exec, exec, s[44:45]
	s_and_b64 s[48:49], s[50:51], exec
	s_orn2_b64 s[44:45], s[46:47], exec
.LBB24_18:                              ;   in Loop: Header=BB24_22 Depth=2
	s_or_b64 exec, exec, s[42:43]
	s_orn2_b64 s[42:43], s[48:49], exec
	s_orn2_b64 s[44:45], s[44:45], exec
.LBB24_19:                              ;   in Loop: Header=BB24_22 Depth=2
	s_or_b64 exec, exec, s[40:41]
	s_and_b64 s[42:43], s[42:43], exec
	s_orn2_b64 s[40:41], s[44:45], exec
.LBB24_20:                              ;   in Loop: Header=BB24_22 Depth=2
	s_or_b64 exec, exec, s[38:39]
	s_andn2_b64 s[30:31], s[30:31], exec
	s_and_b64 s[38:39], s[42:43], exec
	s_or_b64 s[30:31], s[30:31], s[38:39]
	s_andn2_b64 s[28:29], s[28:29], exec
	s_and_b64 s[38:39], s[40:41], exec
	s_or_b64 s[28:29], s[28:29], s[38:39]
.LBB24_21:                              ;   in Loop: Header=BB24_22 Depth=2
	s_or_b64 exec, exec, s[36:37]
	s_and_b64 s[36:37], exec, s[28:29]
	s_or_b64 s[26:27], s[36:37], s[26:27]
	s_andn2_b64 s[18:19], s[18:19], exec
	s_and_b64 s[36:37], s[30:31], exec
	s_or_b64 s[18:19], s[18:19], s[36:37]
	s_andn2_b64 exec, exec, s[26:27]
	s_cbranch_execz .LBB24_31
.LBB24_22:                              ;   Parent Loop BB24_13 Depth=1
                                        ; =>  This Inner Loop Header: Depth=2
	v_and_b32_e32 v16, 0x3ff, v17
	v_lshl_add_u32 v21, v16, 2, v20
	ds_read_b32 v22, v21
	s_or_b64 s[30:31], s[30:31], exec
	s_or_b64 s[28:29], s[28:29], exec
	s_waitcnt lgkmcnt(0)
	v_cmp_ne_u32_e32 vcc, v22, v11
	s_and_saveexec_b64 s[36:37], vcc
	s_cbranch_execz .LBB24_21
; %bb.23:                               ;   in Loop: Header=BB24_22 Depth=2
	ds_cmpst_rtn_b32 v21, v21, v14, v11
	s_mov_b64 s[40:41], -1
	s_mov_b64 s[42:43], 0
	s_waitcnt lgkmcnt(0)
	v_cmp_ne_u32_e32 vcc, -1, v21
	s_and_saveexec_b64 s[38:39], vcc
	s_cbranch_execz .LBB24_20
; %bb.24:                               ;   in Loop: Header=BB24_22 Depth=2
	v_add_u32_e32 v16, 1, v17
	v_and_b32_e32 v16, 0x3ff, v16
	v_lshl_add_u32 v21, v16, 2, v20
	ds_read_b32 v22, v21
	s_mov_b64 s[44:45], -1
	s_mov_b64 s[42:43], -1
	s_waitcnt lgkmcnt(0)
	v_cmp_ne_u32_e32 vcc, v22, v11
	s_and_saveexec_b64 s[40:41], vcc
	s_cbranch_execz .LBB24_19
; %bb.25:                               ;   in Loop: Header=BB24_22 Depth=2
	ds_cmpst_rtn_b32 v21, v21, v14, v11
	s_mov_b64 s[48:49], 0
	s_waitcnt lgkmcnt(0)
	v_cmp_ne_u32_e32 vcc, -1, v21
	s_and_saveexec_b64 s[42:43], vcc
	s_cbranch_execz .LBB24_18
; %bb.26:                               ;   in Loop: Header=BB24_22 Depth=2
	v_add_u32_e32 v16, 2, v17
	v_and_b32_e32 v16, 0x3ff, v16
	v_lshl_add_u32 v21, v16, 2, v20
	ds_read_b32 v22, v21
	s_mov_b64 s[46:47], -1
	s_mov_b64 s[50:51], -1
	s_waitcnt lgkmcnt(0)
	v_cmp_ne_u32_e32 vcc, v22, v11
	s_and_saveexec_b64 s[44:45], vcc
	s_cbranch_execz .LBB24_17
; %bb.27:                               ;   in Loop: Header=BB24_22 Depth=2
	ds_cmpst_rtn_b32 v21, v21, v14, v11
	s_mov_b64 s[48:49], -1
	s_mov_b64 s[50:51], 0
	s_waitcnt lgkmcnt(0)
	v_cmp_ne_u32_e32 vcc, -1, v21
	s_and_saveexec_b64 s[46:47], vcc
	s_cbranch_execz .LBB24_16
; %bb.28:                               ;   in Loop: Header=BB24_22 Depth=2
	v_add_u32_e32 v16, 3, v17
	v_and_b32_e32 v16, 0x3ff, v16
	v_lshl_add_u32 v21, v16, 2, v20
	ds_read_b32 v17, v21
	s_mov_b64 s[52:53], -1
	s_mov_b64 s[50:51], -1
	s_waitcnt lgkmcnt(0)
	v_cmp_ne_u32_e32 vcc, v17, v11
                                        ; implicit-def: $vgpr17
	s_and_saveexec_b64 s[48:49], vcc
	s_cbranch_execz .LBB24_15
; %bb.29:                               ;   in Loop: Header=BB24_22 Depth=2
	ds_cmpst_rtn_b32 v17, v21, v14, v11
	s_mov_b64 s[50:51], 0
	s_waitcnt lgkmcnt(0)
	v_cmp_ne_u32_e32 vcc, -1, v17
                                        ; implicit-def: $vgpr17
	s_and_saveexec_b64 s[54:55], vcc
	s_cbranch_execz .LBB24_14
; %bb.30:                               ;   in Loop: Header=BB24_22 Depth=2
	v_add_u32_e32 v15, -4, v15
	v_cmp_eq_u32_e32 vcc, 0, v15
	s_mov_b64 s[50:51], exec
	v_add_u32_e32 v17, 1, v16
	s_orn2_b64 s[52:53], vcc, exec
	s_branch .LBB24_14
.LBB24_31:                              ;   in Loop: Header=BB24_13 Depth=1
	s_or_b64 exec, exec, s[26:27]
	s_xor_b64 s[18:19], s[18:19], -1
	s_and_saveexec_b64 s[26:27], s[18:19]
	s_xor_b64 s[18:19], exec, s[26:27]
	s_cbranch_execz .LBB24_12
; %bb.32:                               ;   in Loop: Header=BB24_13 Depth=1
	v_lshl_add_u32 v11, v16, 2, v0
	ds_write_b32 v11, v10
	s_branch .LBB24_12
.LBB24_33:
	s_or_b64 exec, exec, s[0:1]
	s_waitcnt vmcnt(0)
	v_cmp_lt_i32_e32 vcc, v9, v8
	s_waitcnt lgkmcnt(0)
	s_and_saveexec_b64 s[0:1], vcc
	s_cbranch_execz .LBB24_63
; %bb.34:
	v_add_u32_e32 v21, 1, v18
	s_mov_b64 s[6:7], 0
	v_mov_b32_e32 v22, s11
	v_mov_b32_e32 v23, s13
	;; [unrolled: 1-line block ×5, first 2 shown]
	s_movk_i32 s9, 0x67
	s_branch .LBB24_37
.LBB24_35:                              ;   in Loop: Header=BB24_37 Depth=1
	s_or_b64 exec, exec, s[26:27]
	v_add_u32_e32 v9, 1, v9
	v_cmp_ge_i32_e32 vcc, v9, v8
	s_orn2_b64 s[26:27], vcc, exec
.LBB24_36:                              ;   in Loop: Header=BB24_37 Depth=1
	s_or_b64 exec, exec, s[18:19]
	s_and_b64 s[18:19], exec, s[26:27]
	s_or_b64 s[6:7], s[18:19], s[6:7]
	s_andn2_b64 exec, exec, s[6:7]
	s_cbranch_execz .LBB24_63
.LBB24_37:                              ; =>This Loop Header: Depth=1
                                        ;     Child Loop BB24_38 Depth 2
                                        ;     Child Loop BB24_43 Depth 2
                                        ;       Child Loop BB24_52 Depth 3
	v_ashrrev_i32_e32 v10, 31, v9
	v_lshlrev_b64 v[11:12], 2, v[9:10]
	s_mov_b64 s[18:19], 0
	v_add_co_u32_e32 v11, vcc, s10, v11
	v_addc_co_u32_e32 v12, vcc, v22, v12, vcc
	global_load_dword v12, v[11:12], off
	v_lshlrev_b64 v[10:11], 3, v[9:10]
	v_add_co_u32_e32 v13, vcc, s12, v10
	v_addc_co_u32_e32 v14, vcc, v23, v11, vcc
	global_load_dwordx2 v[10:11], v[13:14], off
	s_waitcnt vmcnt(1)
	v_subrev_u32_e32 v15, s34, v12
	v_ashrrev_i32_e32 v16, 31, v15
	v_lshlrev_b64 v[15:16], 2, v[15:16]
	v_add_co_u32_e32 v27, vcc, s8, v15
	v_addc_co_u32_e32 v28, vcc, v24, v16, vcc
	v_add_co_u32_e32 v29, vcc, s14, v15
	v_addc_co_u32_e32 v30, vcc, v25, v16, vcc
	global_load_dword v12, v[27:28], off offset:4
	global_load_dword v17, v[29:30], off
	v_add_co_u32_e32 v15, vcc, s16, v15
	v_addc_co_u32_e32 v16, vcc, v26, v16, vcc
.LBB24_38:                              ;   Parent Loop BB24_37 Depth=1
                                        ; =>  This Inner Loop Header: Depth=2
	global_load_dword v27, v[15:16], off glc
	s_waitcnt vmcnt(0)
	v_cmp_ne_u32_e32 vcc, 0, v27
	s_or_b64 s[18:19], vcc, s[18:19]
	s_andn2_b64 exec, exec, s[18:19]
	s_cbranch_execnz .LBB24_38
; %bb.39:                               ;   in Loop: Header=BB24_37 Depth=1
	s_or_b64 exec, exec, s[18:19]
	v_subrev_u32_e32 v27, s34, v12
	v_add_u32_e32 v12, -1, v27
	v_cmp_eq_u32_e32 vcc, -1, v17
	v_cndmask_b32_e32 v15, v17, v12, vcc
	v_ashrrev_i32_e32 v16, 31, v15
	v_lshlrev_b64 v[16:17], 3, v[15:16]
	buffer_wbinvl1_vol
	v_add_co_u32_e32 v16, vcc, s12, v16
	v_addc_co_u32_e32 v17, vcc, v23, v17, vcc
	global_load_dwordx2 v[16:17], v[16:17], off
	s_mov_b64 s[26:27], -1
	s_waitcnt vmcnt(0)
	v_cmp_neq_f64_e32 vcc, 0, v[16:17]
	s_and_saveexec_b64 s[18:19], vcc
	s_cbranch_execz .LBB24_36
; %bb.40:                               ;   in Loop: Header=BB24_37 Depth=1
	v_div_scale_f64 v[28:29], s[26:27], v[16:17], v[16:17], v[10:11]
	v_add_u32_e32 v12, v21, v15
	v_rcp_f64_e32 v[30:31], v[28:29]
	v_fma_f64 v[32:33], -v[28:29], v[30:31], 1.0
	v_fma_f64 v[30:31], v[30:31], v[32:33], v[30:31]
	v_div_scale_f64 v[32:33], vcc, v[10:11], v[16:17], v[10:11]
	v_fma_f64 v[34:35], -v[28:29], v[30:31], 1.0
	v_fma_f64 v[30:31], v[30:31], v[34:35], v[30:31]
	v_mul_f64 v[34:35], v[32:33], v[30:31]
	v_fma_f64 v[28:29], -v[28:29], v[34:35], v[32:33]
	v_div_fmas_f64 v[28:29], v[28:29], v[30:31], v[34:35]
	v_cmp_lt_i32_e32 vcc, v12, v27
	v_div_fixup_f64 v[10:11], v[28:29], v[16:17], v[10:11]
	global_store_dwordx2 v[13:14], v[10:11], off
	s_and_saveexec_b64 s[26:27], vcc
	s_cbranch_execz .LBB24_35
; %bb.41:                               ;   in Loop: Header=BB24_37 Depth=1
	s_mov_b64 s[28:29], 0
	s_branch .LBB24_43
.LBB24_42:                              ;   in Loop: Header=BB24_43 Depth=2
	s_or_b64 exec, exec, s[30:31]
	v_add_u32_e32 v12, 64, v12
	v_cmp_ge_i32_e32 vcc, v12, v27
	s_or_b64 s[28:29], vcc, s[28:29]
	s_andn2_b64 exec, exec, s[28:29]
	s_cbranch_execz .LBB24_35
.LBB24_43:                              ;   Parent Loop BB24_37 Depth=1
                                        ; =>  This Loop Header: Depth=2
                                        ;       Child Loop BB24_52 Depth 3
	v_ashrrev_i32_e32 v13, 31, v12
	v_lshlrev_b64 v[14:15], 2, v[12:13]
	s_mov_b64 s[36:37], 0
	v_add_co_u32_e32 v14, vcc, s10, v14
	v_addc_co_u32_e32 v15, vcc, v22, v15, vcc
	global_load_dword v14, v[14:15], off
	v_mov_b32_e32 v15, 0x400
                                        ; implicit-def: $sgpr30_sgpr31
                                        ; implicit-def: $sgpr38_sgpr39
                                        ; implicit-def: $sgpr40_sgpr41
	s_waitcnt vmcnt(0)
	v_mul_lo_u32 v17, v14, s9
	s_branch .LBB24_52
.LBB24_44:                              ;   in Loop: Header=BB24_52 Depth=3
	s_or_b64 exec, exec, s[60:61]
	s_orn2_b64 s[56:57], s[56:57], exec
	s_orn2_b64 s[58:59], s[58:59], exec
.LBB24_45:                              ;   in Loop: Header=BB24_52 Depth=3
	s_or_b64 exec, exec, s[54:55]
	s_and_b64 s[56:57], s[56:57], exec
	s_orn2_b64 s[54:55], s[58:59], exec
.LBB24_46:                              ;   in Loop: Header=BB24_52 Depth=3
	s_or_b64 exec, exec, s[52:53]
	s_orn2_b64 s[56:57], s[56:57], exec
	s_orn2_b64 s[52:53], s[54:55], exec
.LBB24_47:                              ;   in Loop: Header=BB24_52 Depth=3
	s_or_b64 exec, exec, s[50:51]
	s_and_b64 s[54:55], s[56:57], exec
	s_orn2_b64 s[50:51], s[52:53], exec
.LBB24_48:                              ;   in Loop: Header=BB24_52 Depth=3
	s_or_b64 exec, exec, s[48:49]
	s_orn2_b64 s[48:49], s[54:55], exec
	s_orn2_b64 s[50:51], s[50:51], exec
.LBB24_49:                              ;   in Loop: Header=BB24_52 Depth=3
	s_or_b64 exec, exec, s[46:47]
	s_and_b64 s[48:49], s[48:49], exec
	s_orn2_b64 s[46:47], s[50:51], exec
.LBB24_50:                              ;   in Loop: Header=BB24_52 Depth=3
	s_or_b64 exec, exec, s[44:45]
	s_andn2_b64 s[40:41], s[40:41], exec
	s_and_b64 s[44:45], s[48:49], exec
	s_or_b64 s[40:41], s[40:41], s[44:45]
	s_andn2_b64 s[38:39], s[38:39], exec
	s_and_b64 s[44:45], s[46:47], exec
	s_or_b64 s[38:39], s[38:39], s[44:45]
.LBB24_51:                              ;   in Loop: Header=BB24_52 Depth=3
	s_or_b64 exec, exec, s[42:43]
	s_and_b64 s[42:43], exec, s[38:39]
	s_or_b64 s[36:37], s[42:43], s[36:37]
	s_andn2_b64 s[30:31], s[30:31], exec
	s_and_b64 s[42:43], s[40:41], exec
	s_or_b64 s[30:31], s[30:31], s[42:43]
	s_andn2_b64 exec, exec, s[36:37]
	s_cbranch_execz .LBB24_61
.LBB24_52:                              ;   Parent Loop BB24_37 Depth=1
                                        ;     Parent Loop BB24_43 Depth=2
                                        ; =>    This Inner Loop Header: Depth=3
	v_and_b32_e32 v16, 0x3ff, v17
	v_lshl_add_u32 v28, v16, 2, v20
	ds_read_b32 v28, v28
	s_or_b64 s[40:41], s[40:41], exec
	s_or_b64 s[38:39], s[38:39], exec
	s_waitcnt lgkmcnt(0)
	v_cmp_ne_u32_e32 vcc, -1, v28
	s_and_saveexec_b64 s[42:43], vcc
	s_cbranch_execz .LBB24_51
; %bb.53:                               ;   in Loop: Header=BB24_52 Depth=3
	v_cmp_ne_u32_e32 vcc, v28, v14
	s_mov_b64 s[46:47], -1
	s_mov_b64 s[48:49], 0
	s_and_saveexec_b64 s[44:45], vcc
	s_cbranch_execz .LBB24_50
; %bb.54:                               ;   in Loop: Header=BB24_52 Depth=3
	v_add_u32_e32 v16, 1, v17
	v_and_b32_e32 v16, 0x3ff, v16
	v_lshl_add_u32 v28, v16, 2, v20
	ds_read_b32 v28, v28
	s_mov_b64 s[50:51], -1
	s_mov_b64 s[48:49], -1
	s_waitcnt lgkmcnt(0)
	v_cmp_ne_u32_e32 vcc, -1, v28
	s_and_saveexec_b64 s[46:47], vcc
	s_cbranch_execz .LBB24_49
; %bb.55:                               ;   in Loop: Header=BB24_52 Depth=3
	v_cmp_ne_u32_e32 vcc, v28, v14
	s_mov_b64 s[54:55], 0
	s_and_saveexec_b64 s[48:49], vcc
	s_cbranch_execz .LBB24_48
; %bb.56:                               ;   in Loop: Header=BB24_52 Depth=3
	v_add_u32_e32 v16, 2, v17
	v_and_b32_e32 v16, 0x3ff, v16
	v_lshl_add_u32 v28, v16, 2, v20
	ds_read_b32 v28, v28
	s_mov_b64 s[52:53], -1
	s_mov_b64 s[56:57], -1
	s_waitcnt lgkmcnt(0)
	v_cmp_ne_u32_e32 vcc, -1, v28
	s_and_saveexec_b64 s[50:51], vcc
	s_cbranch_execz .LBB24_47
; %bb.57:                               ;   in Loop: Header=BB24_52 Depth=3
	v_cmp_ne_u32_e32 vcc, v28, v14
	s_mov_b64 s[54:55], -1
	s_mov_b64 s[56:57], 0
	s_and_saveexec_b64 s[52:53], vcc
	s_cbranch_execz .LBB24_46
; %bb.58:                               ;   in Loop: Header=BB24_52 Depth=3
	v_add_u32_e32 v16, 3, v17
	v_and_b32_e32 v16, 0x3ff, v16
	v_lshl_add_u32 v17, v16, 2, v20
	ds_read_b32 v28, v17
	s_mov_b64 s[58:59], -1
	s_mov_b64 s[56:57], -1
                                        ; implicit-def: $vgpr17
	s_waitcnt lgkmcnt(0)
	v_cmp_ne_u32_e32 vcc, -1, v28
	s_and_saveexec_b64 s[54:55], vcc
	s_cbranch_execz .LBB24_45
; %bb.59:                               ;   in Loop: Header=BB24_52 Depth=3
	v_cmp_ne_u32_e32 vcc, v28, v14
	s_mov_b64 s[56:57], 0
                                        ; implicit-def: $vgpr17
	s_and_saveexec_b64 s[60:61], vcc
	s_cbranch_execz .LBB24_44
; %bb.60:                               ;   in Loop: Header=BB24_52 Depth=3
	v_add_u32_e32 v15, -4, v15
	v_cmp_eq_u32_e32 vcc, 0, v15
	s_mov_b64 s[56:57], exec
	v_add_u32_e32 v17, 1, v16
	s_orn2_b64 s[58:59], vcc, exec
	s_branch .LBB24_44
.LBB24_61:                              ;   in Loop: Header=BB24_43 Depth=2
	s_or_b64 exec, exec, s[36:37]
	s_xor_b64 s[30:31], s[30:31], -1
	s_and_saveexec_b64 s[36:37], s[30:31]
	s_xor_b64 s[30:31], exec, s[36:37]
	s_cbranch_execz .LBB24_42
; %bb.62:                               ;   in Loop: Header=BB24_43 Depth=2
	v_lshl_add_u32 v14, v16, 2, v0
	ds_read_b32 v14, v14
	v_lshlrev_b64 v[16:17], 3, v[12:13]
	v_add_co_u32_e32 v16, vcc, s12, v16
	s_waitcnt lgkmcnt(0)
	v_ashrrev_i32_e32 v15, 31, v14
	v_lshlrev_b64 v[13:14], 3, v[14:15]
	v_addc_co_u32_e32 v17, vcc, v23, v17, vcc
	v_add_co_u32_e32 v13, vcc, s12, v13
	v_addc_co_u32_e32 v14, vcc, v23, v14, vcc
	global_load_dwordx2 v[28:29], v[16:17], off
	global_load_dwordx2 v[30:31], v[13:14], off
	s_waitcnt vmcnt(0)
	v_fma_f64 v[15:16], -v[10:11], v[28:29], v[30:31]
	global_store_dwordx2 v[13:14], v[15:16], off
	s_branch .LBB24_42
.LBB24_63:
	s_or_b64 exec, exec, s[0:1]
	v_cmp_lt_i32_e32 vcc, -1, v8
	s_and_saveexec_b64 s[6:7], vcc
	s_cbranch_execz .LBB24_79
; %bb.64:
	v_mov_b32_e32 v9, 0
	v_lshlrev_b64 v[8:9], 3, v[8:9]
	v_mov_b32_e32 v0, s13
	v_add_co_u32_e32 v10, vcc, s12, v8
	v_addc_co_u32_e32 v11, vcc, v0, v9, vcc
	global_load_dwordx2 v[8:9], v[10:11], off
	s_andn2_b64 vcc, exec, s[2:3]
	v_cmp_eq_u32_e64 s[0:1], 0, v18
	s_waitcnt vmcnt(0)
	v_cmp_gt_f64_e64 s[2:3], 0, v[8:9]
	v_xor_b32_e32 v0, 0x80000000, v9
	v_mov_b32_e32 v12, v8
	v_cndmask_b32_e64 v13, v9, v0, s[2:3]
	s_mov_b64 s[2:3], -1
	s_cbranch_vccnz .LBB24_68
; %bb.65:
	v_cvt_f64_f32_e32 v[14:15], v19
	s_cmp_eq_u64 s[24:25], 8
	s_cselect_b64 vcc, -1, 0
	v_cndmask_b32_e32 v4, v15, v4, vcc
	v_cndmask_b32_e32 v3, v14, v3, vcc
	v_cmp_le_f64_e32 vcc, v[12:13], v[3:4]
	s_and_b64 s[8:9], s[0:1], vcc
	s_and_saveexec_b64 s[2:3], s[8:9]
	s_cbranch_execz .LBB24_67
; %bb.66:
	global_store_dwordx2 v[10:11], v[5:6], off
	s_waitcnt vmcnt(0)
	buffer_wbinvl1_vol
.LBB24_67:
	s_or_b64 exec, exec, s[2:3]
	s_mov_b64 s[2:3], 0
.LBB24_68:
	s_andn2_b64 vcc, exec, s[2:3]
	s_cbranch_vccnz .LBB24_79
; %bb.69:
	s_load_dwordx2 s[2:3], s[4:5], 0x48
	v_add_u32_e32 v0, s34, v7
	s_waitcnt lgkmcnt(0)
	v_cmp_ge_f64_e32 vcc, s[2:3], v[12:13]
	s_and_b64 s[4:5], s[0:1], vcc
	s_and_saveexec_b64 s[2:3], s[4:5]
	s_cbranch_execz .LBB24_74
; %bb.70:
	s_mov_b64 s[4:5], exec
	s_brev_b32 s8, -2
.LBB24_71:                              ; =>This Inner Loop Header: Depth=1
	s_ff1_i32_b64 s9, s[4:5]
	v_readlane_b32 s12, v0, s9
	s_lshl_b64 s[10:11], 1, s9
	s_min_i32 s8, s8, s12
	s_andn2_b64 s[4:5], s[4:5], s[10:11]
	s_cmp_lg_u64 s[4:5], 0
	s_cbranch_scc1 .LBB24_71
; %bb.72:
	v_mbcnt_lo_u32_b32 v3, exec_lo, 0
	v_mbcnt_hi_u32_b32 v3, exec_hi, v3
	v_cmp_eq_u32_e32 vcc, 0, v3
	s_and_saveexec_b64 s[4:5], vcc
	s_xor_b64 s[4:5], exec, s[4:5]
	s_cbranch_execz .LBB24_74
; %bb.73:
	v_mov_b32_e32 v3, 0
	v_mov_b32_e32 v4, s8
	global_atomic_smin v3, v4, s[22:23]
.LBB24_74:
	s_or_b64 exec, exec, s[2:3]
	v_cmp_eq_f64_e32 vcc, 0, v[8:9]
	s_and_b64 s[0:1], s[0:1], vcc
	s_and_b64 exec, exec, s[0:1]
	s_cbranch_execz .LBB24_79
; %bb.75:
	s_mov_b64 s[0:1], exec
	s_brev_b32 s2, -2
.LBB24_76:                              ; =>This Inner Loop Header: Depth=1
	s_ff1_i32_b64 s3, s[0:1]
	v_readlane_b32 s8, v0, s3
	s_lshl_b64 s[4:5], 1, s3
	s_min_i32 s2, s2, s8
	s_andn2_b64 s[0:1], s[0:1], s[4:5]
	s_cmp_lg_u64 s[0:1], 0
	s_cbranch_scc1 .LBB24_76
; %bb.77:
	v_mbcnt_lo_u32_b32 v0, exec_lo, 0
	v_mbcnt_hi_u32_b32 v0, exec_hi, v0
	v_cmp_eq_u32_e32 vcc, 0, v0
	s_and_saveexec_b64 s[0:1], vcc
	s_xor_b64 s[0:1], exec, s[0:1]
	s_cbranch_execz .LBB24_79
; %bb.78:
	v_mov_b32_e32 v0, 0
	v_mov_b32_e32 v3, s2
	global_atomic_smin v0, v3, s[20:21]
.LBB24_79:
	s_or_b64 exec, exec, s[6:7]
	v_cmp_eq_u32_e32 vcc, 0, v18
	s_waitcnt vmcnt(0)
	buffer_wbinvl1_vol
	s_and_b64 exec, exec, vcc
	s_cbranch_execz .LBB24_81
; %bb.80:
	v_mov_b32_e32 v3, s17
	v_add_co_u32_e32 v0, vcc, s16, v1
	v_addc_co_u32_e32 v1, vcc, v3, v2, vcc
	v_mov_b32_e32 v2, 1
	global_store_dword v[0:1], v2, off
.LBB24_81:
	s_endpgm
	.section	.rodata,"a",@progbits
	.p2align	6, 0x0
	.amdhsa_kernel _ZN9rocsparseL12csrilu0_hashILj256ELj64ELj16EdEEviPKiS2_PT2_S2_PiS2_S5_S5_d21rocsparse_index_base_imNS_24const_host_device_scalarIfEENS7_IdEENS7_IS3_EEb
		.amdhsa_group_segment_fixed_size 32768
		.amdhsa_private_segment_fixed_size 0
		.amdhsa_kernarg_size 124
		.amdhsa_user_sgpr_count 6
		.amdhsa_user_sgpr_private_segment_buffer 1
		.amdhsa_user_sgpr_dispatch_ptr 0
		.amdhsa_user_sgpr_queue_ptr 0
		.amdhsa_user_sgpr_kernarg_segment_ptr 1
		.amdhsa_user_sgpr_dispatch_id 0
		.amdhsa_user_sgpr_flat_scratch_init 0
		.amdhsa_user_sgpr_private_segment_size 0
		.amdhsa_uses_dynamic_stack 0
		.amdhsa_system_sgpr_private_segment_wavefront_offset 0
		.amdhsa_system_sgpr_workgroup_id_x 1
		.amdhsa_system_sgpr_workgroup_id_y 0
		.amdhsa_system_sgpr_workgroup_id_z 0
		.amdhsa_system_sgpr_workgroup_info 0
		.amdhsa_system_vgpr_workitem_id 0
		.amdhsa_next_free_vgpr 85
		.amdhsa_next_free_sgpr 98
		.amdhsa_reserve_vcc 1
		.amdhsa_reserve_flat_scratch 0
		.amdhsa_float_round_mode_32 0
		.amdhsa_float_round_mode_16_64 0
		.amdhsa_float_denorm_mode_32 3
		.amdhsa_float_denorm_mode_16_64 3
		.amdhsa_dx10_clamp 1
		.amdhsa_ieee_mode 1
		.amdhsa_fp16_overflow 0
		.amdhsa_exception_fp_ieee_invalid_op 0
		.amdhsa_exception_fp_denorm_src 0
		.amdhsa_exception_fp_ieee_div_zero 0
		.amdhsa_exception_fp_ieee_overflow 0
		.amdhsa_exception_fp_ieee_underflow 0
		.amdhsa_exception_fp_ieee_inexact 0
		.amdhsa_exception_int_div_zero 0
	.end_amdhsa_kernel
	.section	.text._ZN9rocsparseL12csrilu0_hashILj256ELj64ELj16EdEEviPKiS2_PT2_S2_PiS2_S5_S5_d21rocsparse_index_base_imNS_24const_host_device_scalarIfEENS7_IdEENS7_IS3_EEb,"axG",@progbits,_ZN9rocsparseL12csrilu0_hashILj256ELj64ELj16EdEEviPKiS2_PT2_S2_PiS2_S5_S5_d21rocsparse_index_base_imNS_24const_host_device_scalarIfEENS7_IdEENS7_IS3_EEb,comdat
.Lfunc_end24:
	.size	_ZN9rocsparseL12csrilu0_hashILj256ELj64ELj16EdEEviPKiS2_PT2_S2_PiS2_S5_S5_d21rocsparse_index_base_imNS_24const_host_device_scalarIfEENS7_IdEENS7_IS3_EEb, .Lfunc_end24-_ZN9rocsparseL12csrilu0_hashILj256ELj64ELj16EdEEviPKiS2_PT2_S2_PiS2_S5_S5_d21rocsparse_index_base_imNS_24const_host_device_scalarIfEENS7_IdEENS7_IS3_EEb
                                        ; -- End function
	.set _ZN9rocsparseL12csrilu0_hashILj256ELj64ELj16EdEEviPKiS2_PT2_S2_PiS2_S5_S5_d21rocsparse_index_base_imNS_24const_host_device_scalarIfEENS7_IdEENS7_IS3_EEb.num_vgpr, 36
	.set _ZN9rocsparseL12csrilu0_hashILj256ELj64ELj16EdEEviPKiS2_PT2_S2_PiS2_S5_S5_d21rocsparse_index_base_imNS_24const_host_device_scalarIfEENS7_IdEENS7_IS3_EEb.num_agpr, 0
	.set _ZN9rocsparseL12csrilu0_hashILj256ELj64ELj16EdEEviPKiS2_PT2_S2_PiS2_S5_S5_d21rocsparse_index_base_imNS_24const_host_device_scalarIfEENS7_IdEENS7_IS3_EEb.numbered_sgpr, 62
	.set _ZN9rocsparseL12csrilu0_hashILj256ELj64ELj16EdEEviPKiS2_PT2_S2_PiS2_S5_S5_d21rocsparse_index_base_imNS_24const_host_device_scalarIfEENS7_IdEENS7_IS3_EEb.num_named_barrier, 0
	.set _ZN9rocsparseL12csrilu0_hashILj256ELj64ELj16EdEEviPKiS2_PT2_S2_PiS2_S5_S5_d21rocsparse_index_base_imNS_24const_host_device_scalarIfEENS7_IdEENS7_IS3_EEb.private_seg_size, 0
	.set _ZN9rocsparseL12csrilu0_hashILj256ELj64ELj16EdEEviPKiS2_PT2_S2_PiS2_S5_S5_d21rocsparse_index_base_imNS_24const_host_device_scalarIfEENS7_IdEENS7_IS3_EEb.uses_vcc, 1
	.set _ZN9rocsparseL12csrilu0_hashILj256ELj64ELj16EdEEviPKiS2_PT2_S2_PiS2_S5_S5_d21rocsparse_index_base_imNS_24const_host_device_scalarIfEENS7_IdEENS7_IS3_EEb.uses_flat_scratch, 0
	.set _ZN9rocsparseL12csrilu0_hashILj256ELj64ELj16EdEEviPKiS2_PT2_S2_PiS2_S5_S5_d21rocsparse_index_base_imNS_24const_host_device_scalarIfEENS7_IdEENS7_IS3_EEb.has_dyn_sized_stack, 0
	.set _ZN9rocsparseL12csrilu0_hashILj256ELj64ELj16EdEEviPKiS2_PT2_S2_PiS2_S5_S5_d21rocsparse_index_base_imNS_24const_host_device_scalarIfEENS7_IdEENS7_IS3_EEb.has_recursion, 0
	.set _ZN9rocsparseL12csrilu0_hashILj256ELj64ELj16EdEEviPKiS2_PT2_S2_PiS2_S5_S5_d21rocsparse_index_base_imNS_24const_host_device_scalarIfEENS7_IdEENS7_IS3_EEb.has_indirect_call, 0
	.section	.AMDGPU.csdata,"",@progbits
; Kernel info:
; codeLenInByte = 2600
; TotalNumSgprs: 66
; NumVgprs: 36
; ScratchSize: 0
; MemoryBound: 0
; FloatMode: 240
; IeeeMode: 1
; LDSByteSize: 32768 bytes/workgroup (compile time only)
; SGPRBlocks: 12
; VGPRBlocks: 21
; NumSGPRsForWavesPerEU: 102
; NumVGPRsForWavesPerEU: 85
; Occupancy: 2
; WaveLimiterHint : 1
; COMPUTE_PGM_RSRC2:SCRATCH_EN: 0
; COMPUTE_PGM_RSRC2:USER_SGPR: 6
; COMPUTE_PGM_RSRC2:TRAP_HANDLER: 0
; COMPUTE_PGM_RSRC2:TGID_X_EN: 1
; COMPUTE_PGM_RSRC2:TGID_Y_EN: 0
; COMPUTE_PGM_RSRC2:TGID_Z_EN: 0
; COMPUTE_PGM_RSRC2:TIDIG_COMP_CNT: 0
	.section	.text._ZN9rocsparseL17csrilu0_binsearchILj256ELj64ELb0EdEEviPKiS2_PT2_S2_PiS2_S5_S5_d21rocsparse_index_base_imNS_24const_host_device_scalarIfEENS7_IdEENS7_IS3_EEb,"axG",@progbits,_ZN9rocsparseL17csrilu0_binsearchILj256ELj64ELb0EdEEviPKiS2_PT2_S2_PiS2_S5_S5_d21rocsparse_index_base_imNS_24const_host_device_scalarIfEENS7_IdEENS7_IS3_EEb,comdat
	.globl	_ZN9rocsparseL17csrilu0_binsearchILj256ELj64ELb0EdEEviPKiS2_PT2_S2_PiS2_S5_S5_d21rocsparse_index_base_imNS_24const_host_device_scalarIfEENS7_IdEENS7_IS3_EEb ; -- Begin function _ZN9rocsparseL17csrilu0_binsearchILj256ELj64ELb0EdEEviPKiS2_PT2_S2_PiS2_S5_S5_d21rocsparse_index_base_imNS_24const_host_device_scalarIfEENS7_IdEENS7_IS3_EEb
	.p2align	8
	.type	_ZN9rocsparseL17csrilu0_binsearchILj256ELj64ELb0EdEEviPKiS2_PT2_S2_PiS2_S5_S5_d21rocsparse_index_base_imNS_24const_host_device_scalarIfEENS7_IdEENS7_IS3_EEb,@function
_ZN9rocsparseL17csrilu0_binsearchILj256ELj64ELb0EdEEviPKiS2_PT2_S2_PiS2_S5_S5_d21rocsparse_index_base_imNS_24const_host_device_scalarIfEENS7_IdEENS7_IS3_EEb: ; @_ZN9rocsparseL17csrilu0_binsearchILj256ELj64ELb0EdEEviPKiS2_PT2_S2_PiS2_S5_S5_d21rocsparse_index_base_imNS_24const_host_device_scalarIfEENS7_IdEENS7_IS3_EEb
; %bb.0:
	s_load_dword s0, s[4:5], 0x78
	s_load_dwordx2 s[34:35], s[4:5], 0x50
	s_load_dwordx8 s[24:31], s[4:5], 0x58
	s_waitcnt lgkmcnt(0)
	s_bitcmp1_b32 s0, 0
	s_cselect_b64 s[0:1], -1, 0
	s_cmp_eq_u32 s35, 0
	s_cselect_b64 s[8:9], -1, 0
	s_cmp_lg_u32 s35, 0
	s_cselect_b64 s[2:3], -1, 0
	s_or_b64 s[0:1], s[8:9], s[0:1]
	s_xor_b64 s[10:11], s[0:1], -1
	s_and_b64 s[12:13], s[8:9], exec
	s_cselect_b32 s13, 0, s29
	s_cselect_b32 s12, 0, s28
	s_and_b64 vcc, exec, s[0:1]
	s_cbranch_vccnz .LBB25_2
; %bb.1:
	s_load_dword s0, s[26:27], 0x0
	s_mov_b64 s[12:13], s[28:29]
	s_waitcnt lgkmcnt(0)
	v_mov_b32_e32 v18, s0
	s_branch .LBB25_3
.LBB25_2:
	v_mov_b32_e32 v1, s26
	v_cndmask_b32_e64 v18, v1, 0, s[8:9]
.LBB25_3:
	v_cndmask_b32_e64 v1, 0, 1, s[10:11]
	v_mov_b32_e32 v3, s12
	v_cmp_ne_u32_e64 s[0:1], 1, v1
	s_andn2_b64 vcc, exec, s[10:11]
	v_mov_b32_e32 v4, s13
	s_cbranch_vccnz .LBB25_5
; %bb.4:
	v_mov_b32_e32 v1, s28
	v_mov_b32_e32 v2, s29
	flat_load_dwordx2 v[3:4], v[1:2]
.LBB25_5:
	s_and_b64 s[8:9], s[8:9], exec
	s_cselect_b32 s8, 0, s30
	s_cselect_b32 s9, 0, s31
	v_mov_b32_e32 v5, s8
	s_and_b64 vcc, exec, s[0:1]
	v_mov_b32_e32 v6, s9
	s_cbranch_vccnz .LBB25_7
; %bb.6:
	v_mov_b32_e32 v1, s30
	v_mov_b32_e32 v2, s31
	flat_load_dwordx2 v[5:6], v[1:2]
.LBB25_7:
	s_load_dword s0, s[4:5], 0x0
	s_lshl_b32 s1, s6, 2
	v_lshrrev_b32_e32 v1, 6, v0
	s_and_b32 s1, s1, 0x3fffffc
	v_or_b32_e32 v1, s1, v1
	s_waitcnt lgkmcnt(0)
	v_cmp_gt_i32_e32 vcc, s0, v1
	s_and_saveexec_b64 s[0:1], vcc
	s_cbranch_execz .LBB25_43
; %bb.8:
	s_load_dwordx16 s[8:23], s[4:5], 0x8
	v_lshlrev_b32_e32 v1, 2, v1
	v_and_b32_e32 v0, 63, v0
	s_waitcnt lgkmcnt(0)
	global_load_dword v7, v1, s[18:19]
	v_mov_b32_e32 v9, s15
	v_mov_b32_e32 v11, s9
	s_waitcnt vmcnt(0)
	v_ashrrev_i32_e32 v8, 31, v7
	v_lshlrev_b64 v[1:2], 2, v[7:8]
	v_add_co_u32_e32 v12, vcc, s14, v1
	v_addc_co_u32_e32 v13, vcc, v9, v2, vcc
	v_add_co_u32_e32 v10, vcc, s8, v1
	v_addc_co_u32_e32 v11, vcc, v11, v2, vcc
	global_load_dword v9, v[10:11], off
	global_load_dword v8, v[12:13], off
	s_waitcnt vmcnt(1)
	v_subrev_u32_e32 v9, s34, v9
	s_waitcnt vmcnt(0)
	v_cmp_lt_i32_e32 vcc, v9, v8
	s_and_saveexec_b64 s[0:1], vcc
	s_cbranch_execz .LBB25_25
; %bb.9:
	global_load_dword v10, v[10:11], off offset:4
	v_add_u32_e32 v19, 1, v0
	s_mov_b64 s[6:7], 0
	v_mov_b32_e32 v20, s11
	v_mov_b32_e32 v21, s13
	;; [unrolled: 1-line block ×5, first 2 shown]
	s_waitcnt vmcnt(0)
	v_xad_u32 v24, s34, -1, v10
	s_branch .LBB25_12
.LBB25_10:                              ;   in Loop: Header=BB25_12 Depth=1
	s_or_b64 exec, exec, s[26:27]
	v_cmp_ge_i32_e32 vcc, v9, v8
	s_orn2_b64 s[26:27], vcc, exec
.LBB25_11:                              ;   in Loop: Header=BB25_12 Depth=1
	s_or_b64 exec, exec, s[18:19]
	s_and_b64 s[18:19], exec, s[26:27]
	s_or_b64 s[6:7], s[18:19], s[6:7]
	s_andn2_b64 exec, exec, s[6:7]
	s_cbranch_execz .LBB25_25
.LBB25_12:                              ; =>This Loop Header: Depth=1
                                        ;     Child Loop BB25_14 Depth 2
                                        ;     Child Loop BB25_19 Depth 2
                                        ;       Child Loop BB25_21 Depth 3
	v_ashrrev_i32_e32 v10, 31, v9
	v_lshlrev_b64 v[11:12], 2, v[9:10]
	v_add_co_u32_e32 v11, vcc, s10, v11
	v_addc_co_u32_e32 v12, vcc, v20, v12, vcc
	global_load_dword v12, v[11:12], off
	v_lshlrev_b64 v[10:11], 3, v[9:10]
	v_add_co_u32_e32 v13, vcc, s12, v10
	v_addc_co_u32_e32 v14, vcc, v21, v11, vcc
	global_load_dwordx2 v[10:11], v[13:14], off
	s_waitcnt vmcnt(1)
	v_subrev_u32_e32 v15, s34, v12
	v_ashrrev_i32_e32 v16, 31, v15
	v_lshlrev_b64 v[15:16], 2, v[15:16]
	v_add_co_u32_e32 v26, vcc, s8, v15
	v_addc_co_u32_e32 v27, vcc, v22, v16, vcc
	v_add_co_u32_e32 v28, vcc, s14, v15
	v_addc_co_u32_e32 v29, vcc, v23, v16, vcc
	;; [unrolled: 2-line block ×3, first 2 shown]
	global_load_dword v17, v[26:27], off offset:4
	global_load_dword v12, v[28:29], off
	global_load_dword v30, v[15:16], off glc
	s_waitcnt vmcnt(0)
	v_cmp_eq_u32_e32 vcc, 0, v30
	s_and_saveexec_b64 s[18:19], vcc
	s_cbranch_execz .LBB25_15
; %bb.13:                               ;   in Loop: Header=BB25_12 Depth=1
	s_mov_b64 s[26:27], 0
.LBB25_14:                              ;   Parent Loop BB25_12 Depth=1
                                        ; =>  This Inner Loop Header: Depth=2
	global_load_dword v26, v[15:16], off glc
	s_waitcnt vmcnt(0)
	v_cmp_ne_u32_e32 vcc, 0, v26
	s_or_b64 s[26:27], vcc, s[26:27]
	s_andn2_b64 exec, exec, s[26:27]
	s_cbranch_execnz .LBB25_14
.LBB25_15:                              ;   in Loop: Header=BB25_12 Depth=1
	s_or_b64 exec, exec, s[18:19]
	v_subrev_u32_e32 v26, s34, v17
	v_add_u32_e32 v15, -1, v26
	v_cmp_eq_u32_e32 vcc, -1, v12
	v_cndmask_b32_e32 v15, v12, v15, vcc
	v_ashrrev_i32_e32 v16, 31, v15
	v_lshlrev_b64 v[16:17], 3, v[15:16]
	v_mov_b32_e32 v12, s13
	v_add_co_u32_e32 v16, vcc, s12, v16
	v_addc_co_u32_e32 v17, vcc, v12, v17, vcc
	buffer_wbinvl1_vol
	global_load_dwordx2 v[16:17], v[16:17], off
	s_mov_b64 s[26:27], -1
	s_waitcnt vmcnt(0)
	v_cmp_neq_f64_e32 vcc, 0, v[16:17]
	s_and_saveexec_b64 s[18:19], vcc
	s_xor_b64 s[18:19], exec, s[18:19]
	s_cbranch_execz .LBB25_11
; %bb.16:                               ;   in Loop: Header=BB25_12 Depth=1
	v_div_scale_f64 v[27:28], s[26:27], v[16:17], v[16:17], v[10:11]
	v_add_u32_e32 v12, v19, v15
	v_add_u32_e32 v9, 1, v9
	v_rcp_f64_e32 v[29:30], v[27:28]
	v_fma_f64 v[31:32], -v[27:28], v[29:30], 1.0
	v_fma_f64 v[29:30], v[29:30], v[31:32], v[29:30]
	v_div_scale_f64 v[31:32], vcc, v[10:11], v[16:17], v[10:11]
	v_fma_f64 v[33:34], -v[27:28], v[29:30], 1.0
	v_fma_f64 v[29:30], v[29:30], v[33:34], v[29:30]
	v_mul_f64 v[33:34], v[31:32], v[29:30]
	v_fma_f64 v[27:28], -v[27:28], v[33:34], v[31:32]
	v_div_fmas_f64 v[27:28], v[27:28], v[29:30], v[33:34]
	v_cmp_lt_i32_e32 vcc, v12, v26
	v_div_fixup_f64 v[10:11], v[27:28], v[16:17], v[10:11]
	global_store_dwordx2 v[13:14], v[10:11], off
	s_and_saveexec_b64 s[26:27], vcc
	s_cbranch_execz .LBB25_10
; %bb.17:                               ;   in Loop: Header=BB25_12 Depth=1
	s_mov_b64 s[28:29], 0
	v_mov_b32_e32 v14, v9
	s_branch .LBB25_19
.LBB25_18:                              ;   in Loop: Header=BB25_19 Depth=2
	s_or_b64 exec, exec, s[30:31]
	v_add_u32_e32 v12, 64, v12
	v_cmp_ge_i32_e32 vcc, v12, v26
	s_or_b64 s[28:29], vcc, s[28:29]
	s_andn2_b64 exec, exec, s[28:29]
	s_cbranch_execz .LBB25_10
.LBB25_19:                              ;   Parent Loop BB25_12 Depth=1
                                        ; =>  This Loop Header: Depth=2
                                        ;       Child Loop BB25_21 Depth 3
	v_ashrrev_i32_e32 v13, 31, v12
	v_lshlrev_b64 v[15:16], 2, v[12:13]
	v_add_u32_e32 v17, v14, v24
	v_mov_b32_e32 v30, s11
	v_add_co_u32_e32 v27, vcc, s10, v15
	v_ashrrev_i32_e32 v15, 1, v17
	v_addc_co_u32_e32 v28, vcc, v30, v16, vcc
	v_ashrrev_i32_e32 v16, 31, v15
	v_lshlrev_b64 v[16:17], 2, v[15:16]
	v_add_co_u32_e32 v29, vcc, s10, v16
	v_addc_co_u32_e32 v30, vcc, v30, v17, vcc
	global_load_dword v17, v[27:28], off
	global_load_dword v16, v[29:30], off
	v_cmp_lt_i32_e32 vcc, v14, v24
	s_and_saveexec_b64 s[30:31], vcc
	s_cbranch_execz .LBB25_23
; %bb.20:                               ;   in Loop: Header=BB25_19 Depth=2
	s_mov_b64 s[36:37], 0
	v_mov_b32_e32 v27, v24
.LBB25_21:                              ;   Parent Loop BB25_12 Depth=1
                                        ;     Parent Loop BB25_19 Depth=2
                                        ; =>    This Inner Loop Header: Depth=3
	v_add_u32_e32 v28, 1, v15
	s_waitcnt vmcnt(0)
	v_cmp_lt_i32_e32 vcc, v16, v17
	v_cndmask_b32_e32 v27, v15, v27, vcc
	v_cndmask_b32_e32 v14, v14, v28, vcc
	v_add_u32_e32 v15, v27, v14
	v_ashrrev_i32_e32 v15, 1, v15
	v_ashrrev_i32_e32 v16, 31, v15
	v_lshlrev_b64 v[28:29], 2, v[15:16]
	v_mov_b32_e32 v16, s11
	v_add_co_u32_e32 v28, vcc, s10, v28
	v_addc_co_u32_e32 v29, vcc, v16, v29, vcc
	global_load_dword v16, v[28:29], off
	v_cmp_ge_i32_e32 vcc, v14, v27
	s_or_b64 s[36:37], vcc, s[36:37]
	s_andn2_b64 exec, exec, s[36:37]
	s_cbranch_execnz .LBB25_21
; %bb.22:                               ;   in Loop: Header=BB25_19 Depth=2
	s_or_b64 exec, exec, s[36:37]
.LBB25_23:                              ;   in Loop: Header=BB25_19 Depth=2
	s_or_b64 exec, exec, s[30:31]
	s_waitcnt vmcnt(0)
	v_cmp_eq_u32_e32 vcc, v16, v17
	s_and_saveexec_b64 s[30:31], vcc
	s_cbranch_execz .LBB25_18
; %bb.24:                               ;   in Loop: Header=BB25_19 Depth=2
	v_lshlrev_b64 v[15:16], 3, v[12:13]
	v_mov_b32_e32 v13, s13
	v_add_co_u32_e32 v27, vcc, s12, v15
	v_ashrrev_i32_e32 v15, 31, v14
	v_addc_co_u32_e32 v28, vcc, v13, v16, vcc
	v_lshlrev_b64 v[15:16], 3, v[14:15]
	v_add_co_u32_e32 v15, vcc, s12, v15
	v_addc_co_u32_e32 v16, vcc, v13, v16, vcc
	global_load_dwordx2 v[29:30], v[27:28], off
	global_load_dwordx2 v[31:32], v[15:16], off
	s_waitcnt vmcnt(0)
	v_fma_f64 v[27:28], -v[10:11], v[29:30], v[31:32]
	global_store_dwordx2 v[15:16], v[27:28], off
	s_branch .LBB25_18
.LBB25_25:
	s_or_b64 exec, exec, s[0:1]
	v_cmp_lt_i32_e32 vcc, -1, v8
	s_and_saveexec_b64 s[6:7], vcc
	s_cbranch_execz .LBB25_41
; %bb.26:
	v_mov_b32_e32 v9, 0
	v_lshlrev_b64 v[8:9], 3, v[8:9]
	v_mov_b32_e32 v11, s13
	v_add_co_u32_e32 v10, vcc, s12, v8
	v_addc_co_u32_e32 v11, vcc, v11, v9, vcc
	global_load_dwordx2 v[8:9], v[10:11], off
	s_andn2_b64 vcc, exec, s[2:3]
	v_cmp_eq_u32_e64 s[0:1], 0, v0
	s_waitcnt vmcnt(0)
	v_cmp_gt_f64_e64 s[2:3], 0, v[8:9]
	v_xor_b32_e32 v13, 0x80000000, v9
	v_mov_b32_e32 v12, v8
	v_cndmask_b32_e64 v13, v9, v13, s[2:3]
	s_mov_b64 s[2:3], -1
	s_cbranch_vccnz .LBB25_30
; %bb.27:
	v_cvt_f64_f32_e32 v[14:15], v18
	s_cmp_eq_u64 s[24:25], 8
	s_cselect_b64 vcc, -1, 0
	v_cndmask_b32_e32 v4, v15, v4, vcc
	v_cndmask_b32_e32 v3, v14, v3, vcc
	v_cmp_le_f64_e32 vcc, v[12:13], v[3:4]
	s_and_b64 s[8:9], s[0:1], vcc
	s_and_saveexec_b64 s[2:3], s[8:9]
	s_cbranch_execz .LBB25_29
; %bb.28:
	global_store_dwordx2 v[10:11], v[5:6], off
.LBB25_29:
	s_or_b64 exec, exec, s[2:3]
	s_mov_b64 s[2:3], 0
.LBB25_30:
	s_andn2_b64 vcc, exec, s[2:3]
	s_cbranch_vccnz .LBB25_41
; %bb.31:
	s_load_dwordx2 s[2:3], s[4:5], 0x48
	v_add_u32_e32 v3, s34, v7
	s_waitcnt lgkmcnt(0)
	v_cmp_ge_f64_e32 vcc, s[2:3], v[12:13]
	s_and_b64 s[4:5], s[0:1], vcc
	s_and_saveexec_b64 s[2:3], s[4:5]
	s_cbranch_execz .LBB25_36
; %bb.32:
	s_mov_b64 s[4:5], exec
	s_brev_b32 s8, -2
.LBB25_33:                              ; =>This Inner Loop Header: Depth=1
	s_ff1_i32_b64 s9, s[4:5]
	v_readlane_b32 s12, v3, s9
	s_lshl_b64 s[10:11], 1, s9
	s_min_i32 s8, s8, s12
	s_andn2_b64 s[4:5], s[4:5], s[10:11]
	s_cmp_lg_u64 s[4:5], 0
	s_cbranch_scc1 .LBB25_33
; %bb.34:
	v_mbcnt_lo_u32_b32 v4, exec_lo, 0
	v_mbcnt_hi_u32_b32 v4, exec_hi, v4
	v_cmp_eq_u32_e32 vcc, 0, v4
	s_and_saveexec_b64 s[4:5], vcc
	s_xor_b64 s[4:5], exec, s[4:5]
	s_cbranch_execz .LBB25_36
; %bb.35:
	v_mov_b32_e32 v4, 0
	v_mov_b32_e32 v5, s8
	global_atomic_smin v4, v5, s[22:23]
.LBB25_36:
	s_or_b64 exec, exec, s[2:3]
	v_cmp_eq_f64_e32 vcc, 0, v[8:9]
	s_and_b64 s[0:1], s[0:1], vcc
	s_and_b64 exec, exec, s[0:1]
	s_cbranch_execz .LBB25_41
; %bb.37:
	s_mov_b64 s[0:1], exec
	s_brev_b32 s2, -2
.LBB25_38:                              ; =>This Inner Loop Header: Depth=1
	s_ff1_i32_b64 s3, s[0:1]
	v_readlane_b32 s8, v3, s3
	s_lshl_b64 s[4:5], 1, s3
	s_min_i32 s2, s2, s8
	s_andn2_b64 s[0:1], s[0:1], s[4:5]
	s_cmp_lg_u64 s[0:1], 0
	s_cbranch_scc1 .LBB25_38
; %bb.39:
	v_mbcnt_lo_u32_b32 v3, exec_lo, 0
	v_mbcnt_hi_u32_b32 v3, exec_hi, v3
	v_cmp_eq_u32_e32 vcc, 0, v3
	s_and_saveexec_b64 s[0:1], vcc
	s_xor_b64 s[0:1], exec, s[0:1]
	s_cbranch_execz .LBB25_41
; %bb.40:
	v_mov_b32_e32 v3, 0
	v_mov_b32_e32 v4, s2
	global_atomic_smin v3, v4, s[20:21]
.LBB25_41:
	s_or_b64 exec, exec, s[6:7]
	v_cmp_eq_u32_e32 vcc, 0, v0
	s_waitcnt vmcnt(0)
	buffer_wbinvl1_vol
	s_and_b64 exec, exec, vcc
	s_cbranch_execz .LBB25_43
; %bb.42:
	v_mov_b32_e32 v3, s17
	v_add_co_u32_e32 v0, vcc, s16, v1
	v_addc_co_u32_e32 v1, vcc, v3, v2, vcc
	v_mov_b32_e32 v2, 1
	global_store_dword v[0:1], v2, off
.LBB25_43:
	s_endpgm
	.section	.rodata,"a",@progbits
	.p2align	6, 0x0
	.amdhsa_kernel _ZN9rocsparseL17csrilu0_binsearchILj256ELj64ELb0EdEEviPKiS2_PT2_S2_PiS2_S5_S5_d21rocsparse_index_base_imNS_24const_host_device_scalarIfEENS7_IdEENS7_IS3_EEb
		.amdhsa_group_segment_fixed_size 0
		.amdhsa_private_segment_fixed_size 0
		.amdhsa_kernarg_size 124
		.amdhsa_user_sgpr_count 6
		.amdhsa_user_sgpr_private_segment_buffer 1
		.amdhsa_user_sgpr_dispatch_ptr 0
		.amdhsa_user_sgpr_queue_ptr 0
		.amdhsa_user_sgpr_kernarg_segment_ptr 1
		.amdhsa_user_sgpr_dispatch_id 0
		.amdhsa_user_sgpr_flat_scratch_init 0
		.amdhsa_user_sgpr_private_segment_size 0
		.amdhsa_uses_dynamic_stack 0
		.amdhsa_system_sgpr_private_segment_wavefront_offset 0
		.amdhsa_system_sgpr_workgroup_id_x 1
		.amdhsa_system_sgpr_workgroup_id_y 0
		.amdhsa_system_sgpr_workgroup_id_z 0
		.amdhsa_system_sgpr_workgroup_info 0
		.amdhsa_system_vgpr_workitem_id 0
		.amdhsa_next_free_vgpr 35
		.amdhsa_next_free_sgpr 38
		.amdhsa_reserve_vcc 1
		.amdhsa_reserve_flat_scratch 0
		.amdhsa_float_round_mode_32 0
		.amdhsa_float_round_mode_16_64 0
		.amdhsa_float_denorm_mode_32 3
		.amdhsa_float_denorm_mode_16_64 3
		.amdhsa_dx10_clamp 1
		.amdhsa_ieee_mode 1
		.amdhsa_fp16_overflow 0
		.amdhsa_exception_fp_ieee_invalid_op 0
		.amdhsa_exception_fp_denorm_src 0
		.amdhsa_exception_fp_ieee_div_zero 0
		.amdhsa_exception_fp_ieee_overflow 0
		.amdhsa_exception_fp_ieee_underflow 0
		.amdhsa_exception_fp_ieee_inexact 0
		.amdhsa_exception_int_div_zero 0
	.end_amdhsa_kernel
	.section	.text._ZN9rocsparseL17csrilu0_binsearchILj256ELj64ELb0EdEEviPKiS2_PT2_S2_PiS2_S5_S5_d21rocsparse_index_base_imNS_24const_host_device_scalarIfEENS7_IdEENS7_IS3_EEb,"axG",@progbits,_ZN9rocsparseL17csrilu0_binsearchILj256ELj64ELb0EdEEviPKiS2_PT2_S2_PiS2_S5_S5_d21rocsparse_index_base_imNS_24const_host_device_scalarIfEENS7_IdEENS7_IS3_EEb,comdat
.Lfunc_end25:
	.size	_ZN9rocsparseL17csrilu0_binsearchILj256ELj64ELb0EdEEviPKiS2_PT2_S2_PiS2_S5_S5_d21rocsparse_index_base_imNS_24const_host_device_scalarIfEENS7_IdEENS7_IS3_EEb, .Lfunc_end25-_ZN9rocsparseL17csrilu0_binsearchILj256ELj64ELb0EdEEviPKiS2_PT2_S2_PiS2_S5_S5_d21rocsparse_index_base_imNS_24const_host_device_scalarIfEENS7_IdEENS7_IS3_EEb
                                        ; -- End function
	.set _ZN9rocsparseL17csrilu0_binsearchILj256ELj64ELb0EdEEviPKiS2_PT2_S2_PiS2_S5_S5_d21rocsparse_index_base_imNS_24const_host_device_scalarIfEENS7_IdEENS7_IS3_EEb.num_vgpr, 35
	.set _ZN9rocsparseL17csrilu0_binsearchILj256ELj64ELb0EdEEviPKiS2_PT2_S2_PiS2_S5_S5_d21rocsparse_index_base_imNS_24const_host_device_scalarIfEENS7_IdEENS7_IS3_EEb.num_agpr, 0
	.set _ZN9rocsparseL17csrilu0_binsearchILj256ELj64ELb0EdEEviPKiS2_PT2_S2_PiS2_S5_S5_d21rocsparse_index_base_imNS_24const_host_device_scalarIfEENS7_IdEENS7_IS3_EEb.numbered_sgpr, 38
	.set _ZN9rocsparseL17csrilu0_binsearchILj256ELj64ELb0EdEEviPKiS2_PT2_S2_PiS2_S5_S5_d21rocsparse_index_base_imNS_24const_host_device_scalarIfEENS7_IdEENS7_IS3_EEb.num_named_barrier, 0
	.set _ZN9rocsparseL17csrilu0_binsearchILj256ELj64ELb0EdEEviPKiS2_PT2_S2_PiS2_S5_S5_d21rocsparse_index_base_imNS_24const_host_device_scalarIfEENS7_IdEENS7_IS3_EEb.private_seg_size, 0
	.set _ZN9rocsparseL17csrilu0_binsearchILj256ELj64ELb0EdEEviPKiS2_PT2_S2_PiS2_S5_S5_d21rocsparse_index_base_imNS_24const_host_device_scalarIfEENS7_IdEENS7_IS3_EEb.uses_vcc, 1
	.set _ZN9rocsparseL17csrilu0_binsearchILj256ELj64ELb0EdEEviPKiS2_PT2_S2_PiS2_S5_S5_d21rocsparse_index_base_imNS_24const_host_device_scalarIfEENS7_IdEENS7_IS3_EEb.uses_flat_scratch, 0
	.set _ZN9rocsparseL17csrilu0_binsearchILj256ELj64ELb0EdEEviPKiS2_PT2_S2_PiS2_S5_S5_d21rocsparse_index_base_imNS_24const_host_device_scalarIfEENS7_IdEENS7_IS3_EEb.has_dyn_sized_stack, 0
	.set _ZN9rocsparseL17csrilu0_binsearchILj256ELj64ELb0EdEEviPKiS2_PT2_S2_PiS2_S5_S5_d21rocsparse_index_base_imNS_24const_host_device_scalarIfEENS7_IdEENS7_IS3_EEb.has_recursion, 0
	.set _ZN9rocsparseL17csrilu0_binsearchILj256ELj64ELb0EdEEviPKiS2_PT2_S2_PiS2_S5_S5_d21rocsparse_index_base_imNS_24const_host_device_scalarIfEENS7_IdEENS7_IS3_EEb.has_indirect_call, 0
	.section	.AMDGPU.csdata,"",@progbits
; Kernel info:
; codeLenInByte = 1556
; TotalNumSgprs: 42
; NumVgprs: 35
; ScratchSize: 0
; MemoryBound: 0
; FloatMode: 240
; IeeeMode: 1
; LDSByteSize: 0 bytes/workgroup (compile time only)
; SGPRBlocks: 5
; VGPRBlocks: 8
; NumSGPRsForWavesPerEU: 42
; NumVGPRsForWavesPerEU: 35
; Occupancy: 7
; WaveLimiterHint : 1
; COMPUTE_PGM_RSRC2:SCRATCH_EN: 0
; COMPUTE_PGM_RSRC2:USER_SGPR: 6
; COMPUTE_PGM_RSRC2:TRAP_HANDLER: 0
; COMPUTE_PGM_RSRC2:TGID_X_EN: 1
; COMPUTE_PGM_RSRC2:TGID_Y_EN: 0
; COMPUTE_PGM_RSRC2:TGID_Z_EN: 0
; COMPUTE_PGM_RSRC2:TIDIG_COMP_CNT: 0
	.section	.text._ZN9rocsparseL17csrilu0_binsearchILj256ELj64ELb1E21rocsparse_complex_numIfEEEviPKiS4_PT2_S4_PiS4_S7_S7_d21rocsparse_index_base_imNS_24const_host_device_scalarIfEENS9_IdEENS9_IS5_EEb,"axG",@progbits,_ZN9rocsparseL17csrilu0_binsearchILj256ELj64ELb1E21rocsparse_complex_numIfEEEviPKiS4_PT2_S4_PiS4_S7_S7_d21rocsparse_index_base_imNS_24const_host_device_scalarIfEENS9_IdEENS9_IS5_EEb,comdat
	.globl	_ZN9rocsparseL17csrilu0_binsearchILj256ELj64ELb1E21rocsparse_complex_numIfEEEviPKiS4_PT2_S4_PiS4_S7_S7_d21rocsparse_index_base_imNS_24const_host_device_scalarIfEENS9_IdEENS9_IS5_EEb ; -- Begin function _ZN9rocsparseL17csrilu0_binsearchILj256ELj64ELb1E21rocsparse_complex_numIfEEEviPKiS4_PT2_S4_PiS4_S7_S7_d21rocsparse_index_base_imNS_24const_host_device_scalarIfEENS9_IdEENS9_IS5_EEb
	.p2align	8
	.type	_ZN9rocsparseL17csrilu0_binsearchILj256ELj64ELb1E21rocsparse_complex_numIfEEEviPKiS4_PT2_S4_PiS4_S7_S7_d21rocsparse_index_base_imNS_24const_host_device_scalarIfEENS9_IdEENS9_IS5_EEb,@function
_ZN9rocsparseL17csrilu0_binsearchILj256ELj64ELb1E21rocsparse_complex_numIfEEEviPKiS4_PT2_S4_PiS4_S7_S7_d21rocsparse_index_base_imNS_24const_host_device_scalarIfEENS9_IdEENS9_IS5_EEb: ; @_ZN9rocsparseL17csrilu0_binsearchILj256ELj64ELb1E21rocsparse_complex_numIfEEEviPKiS4_PT2_S4_PiS4_S7_S7_d21rocsparse_index_base_imNS_24const_host_device_scalarIfEENS9_IdEENS9_IS5_EEb
; %bb.0:
	s_load_dword s0, s[4:5], 0x78
	s_load_dwordx2 s[34:35], s[4:5], 0x50
	s_load_dwordx8 s[24:31], s[4:5], 0x58
	s_waitcnt lgkmcnt(0)
	s_bitcmp1_b32 s0, 0
	s_cselect_b64 s[2:3], -1, 0
	s_cmp_eq_u32 s35, 0
	s_cselect_b64 s[12:13], -1, 0
	s_cmp_lg_u32 s35, 0
	s_cselect_b64 s[8:9], -1, 0
	s_or_b64 s[14:15], s[12:13], s[2:3]
	s_xor_b64 s[0:1], s[14:15], -1
	s_and_b64 s[10:11], s[12:13], exec
	s_cselect_b32 s11, 0, s29
	s_cselect_b32 s10, 0, s28
	s_and_b64 vcc, exec, s[14:15]
	s_cbranch_vccnz .LBB26_2
; %bb.1:
	s_load_dword s7, s[26:27], 0x0
	s_mov_b64 s[10:11], s[28:29]
	s_waitcnt lgkmcnt(0)
	v_mov_b32_e32 v17, s7
	v_mov_b32_e32 v3, s10
	s_andn2_b64 vcc, exec, s[0:1]
	v_mov_b32_e32 v4, s11
	s_cbranch_vccz .LBB26_3
	s_branch .LBB26_4
.LBB26_2:
	v_mov_b32_e32 v1, s26
	v_cndmask_b32_e64 v17, v1, 0, s[12:13]
	v_mov_b32_e32 v3, s10
	s_andn2_b64 vcc, exec, s[0:1]
	v_mov_b32_e32 v4, s11
	s_cbranch_vccnz .LBB26_4
.LBB26_3:
	v_mov_b32_e32 v1, s28
	v_mov_b32_e32 v2, s29
	flat_load_dwordx2 v[3:4], v[1:2]
.LBB26_4:
	v_cndmask_b32_e64 v1, 0, 1, s[8:9]
	s_mov_b32 s33, 0
	v_cmp_ne_u32_e64 s[0:1], 1, v1
	s_andn2_b64 vcc, exec, s[8:9]
	s_mov_b32 s35, 0
	s_cbranch_vccnz .LBB26_10
; %bb.5:
	s_xor_b64 s[8:9], s[2:3], -1
	v_cndmask_b32_e64 v1, 0, 1, s[8:9]
	v_cmp_ne_u32_e64 s[2:3], 1, v1
	s_andn2_b64 vcc, exec, s[8:9]
	s_mov_b32 s33, s30
	s_cbranch_vccnz .LBB26_7
; %bb.6:
	s_load_dword s33, s[30:31], 0x0
.LBB26_7:
	s_and_b64 vcc, exec, s[2:3]
	s_cbranch_vccnz .LBB26_9
; %bb.8:
	s_load_dword s31, s[30:31], 0x4
.LBB26_9:
	s_waitcnt lgkmcnt(0)
	s_mov_b32 s35, s31
.LBB26_10:
	s_load_dword s2, s[4:5], 0x0
	s_lshl_b32 s3, s6, 2
	v_lshrrev_b32_e32 v1, 6, v0
	s_and_b32 s3, s3, 0x3fffffc
	v_or_b32_e32 v1, s3, v1
	s_waitcnt lgkmcnt(0)
	v_cmp_gt_i32_e32 vcc, s2, v1
	s_and_saveexec_b64 s[2:3], vcc
	s_cbranch_execz .LBB26_54
; %bb.11:
	s_load_dwordx16 s[8:23], s[4:5], 0x8
	v_lshlrev_b32_e32 v1, 2, v1
	v_and_b32_e32 v0, 63, v0
	s_waitcnt lgkmcnt(0)
	global_load_dword v5, v1, s[18:19]
	v_mov_b32_e32 v7, s15
	v_mov_b32_e32 v9, s9
	s_waitcnt vmcnt(0)
	v_ashrrev_i32_e32 v6, 31, v5
	v_lshlrev_b64 v[1:2], 2, v[5:6]
	v_add_co_u32_e32 v10, vcc, s14, v1
	v_addc_co_u32_e32 v11, vcc, v7, v2, vcc
	v_add_co_u32_e32 v8, vcc, s8, v1
	v_addc_co_u32_e32 v9, vcc, v9, v2, vcc
	global_load_dword v7, v[8:9], off
	global_load_dword v6, v[10:11], off
	s_waitcnt vmcnt(1)
	v_subrev_u32_e32 v7, s34, v7
	s_waitcnt vmcnt(0)
	v_cmp_lt_i32_e32 vcc, v7, v6
	s_and_saveexec_b64 s[6:7], vcc
	s_cbranch_execz .LBB26_30
; %bb.12:
	global_load_dword v8, v[8:9], off offset:4
	v_add_u32_e32 v18, 1, v0
	s_mov_b64 s[18:19], 0
	v_mov_b32_e32 v19, s11
	v_mov_b32_e32 v20, s13
	;; [unrolled: 1-line block ×5, first 2 shown]
	s_waitcnt vmcnt(0)
	v_xad_u32 v23, s34, -1, v8
	s_branch .LBB26_15
.LBB26_13:                              ;   in Loop: Header=BB26_15 Depth=1
	s_or_b64 exec, exec, s[26:27]
	v_cmp_ge_i32_e32 vcc, v7, v6
	s_orn2_b64 s[26:27], vcc, exec
.LBB26_14:                              ;   in Loop: Header=BB26_15 Depth=1
	s_or_b64 exec, exec, s[2:3]
	s_and_b64 s[2:3], exec, s[26:27]
	s_or_b64 s[18:19], s[2:3], s[18:19]
	s_andn2_b64 exec, exec, s[18:19]
	s_cbranch_execz .LBB26_30
.LBB26_15:                              ; =>This Loop Header: Depth=1
                                        ;     Child Loop BB26_18 Depth 2
                                        ;       Child Loop BB26_19 Depth 3
                                        ;     Child Loop BB26_24 Depth 2
                                        ;       Child Loop BB26_26 Depth 3
	v_ashrrev_i32_e32 v8, 31, v7
	v_lshlrev_b64 v[9:10], 2, v[7:8]
	v_add_co_u32_e32 v9, vcc, s10, v9
	v_addc_co_u32_e32 v10, vcc, v19, v10, vcc
	global_load_dword v11, v[9:10], off
	v_lshlrev_b64 v[8:9], 3, v[7:8]
	v_add_co_u32_e32 v12, vcc, s12, v8
	v_addc_co_u32_e32 v13, vcc, v20, v9, vcc
	global_load_dwordx2 v[9:10], v[12:13], off
	s_waitcnt vmcnt(1)
	v_subrev_u32_e32 v14, s34, v11
	v_ashrrev_i32_e32 v15, 31, v14
	v_lshlrev_b64 v[14:15], 2, v[14:15]
	v_add_co_u32_e32 v25, vcc, s8, v14
	v_addc_co_u32_e32 v26, vcc, v21, v15, vcc
	v_add_co_u32_e32 v27, vcc, s14, v14
	v_addc_co_u32_e32 v28, vcc, v22, v15, vcc
	;; [unrolled: 2-line block ×3, first 2 shown]
	global_load_dword v11, v[25:26], off offset:4
	global_load_dword v8, v[27:28], off
	global_load_dword v16, v[14:15], off glc
	s_waitcnt vmcnt(0)
	v_cmp_eq_u32_e32 vcc, 0, v16
	s_and_saveexec_b64 s[2:3], vcc
	s_cbranch_execz .LBB26_20
; %bb.16:                               ;   in Loop: Header=BB26_15 Depth=1
	s_mov_b32 s9, 0
	s_mov_b64 s[26:27], 0
	s_branch .LBB26_18
.LBB26_17:                              ;   in Loop: Header=BB26_18 Depth=2
	global_load_dword v16, v[14:15], off glc
	s_cmpk_lt_u32 s9, 0xf43
	s_cselect_b64 s[28:29], -1, 0
	s_cmp_lg_u64 s[28:29], 0
	s_addc_u32 s9, s9, 0
	s_waitcnt vmcnt(0)
	v_cmp_ne_u32_e32 vcc, 0, v16
	s_or_b64 s[26:27], vcc, s[26:27]
	s_andn2_b64 exec, exec, s[26:27]
	s_cbranch_execz .LBB26_20
.LBB26_18:                              ;   Parent Loop BB26_15 Depth=1
                                        ; =>  This Loop Header: Depth=2
                                        ;       Child Loop BB26_19 Depth 3
	s_cmp_eq_u32 s9, 0
	s_mov_b32 s15, s9
	s_cbranch_scc1 .LBB26_17
.LBB26_19:                              ;   Parent Loop BB26_15 Depth=1
                                        ;     Parent Loop BB26_18 Depth=2
                                        ; =>    This Inner Loop Header: Depth=3
	s_add_i32 s15, s15, -1
	s_cmp_eq_u32 s15, 0
	s_sleep 1
	s_cbranch_scc0 .LBB26_19
	s_branch .LBB26_17
.LBB26_20:                              ;   in Loop: Header=BB26_15 Depth=1
	s_or_b64 exec, exec, s[2:3]
	v_subrev_u32_e32 v25, s34, v11
	v_add_u32_e32 v11, -1, v25
	v_cmp_eq_u32_e32 vcc, -1, v8
	v_cndmask_b32_e32 v14, v8, v11, vcc
	v_ashrrev_i32_e32 v15, 31, v14
	v_lshlrev_b64 v[15:16], 3, v[14:15]
	v_mov_b32_e32 v8, s13
	v_add_co_u32_e32 v15, vcc, s12, v15
	v_addc_co_u32_e32 v16, vcc, v8, v16, vcc
	buffer_wbinvl1_vol
	global_load_dwordx2 v[15:16], v[15:16], off
	s_mov_b64 s[26:27], -1
	s_waitcnt vmcnt(0)
	v_cmp_neq_f32_e32 vcc, 0, v15
	v_cmp_neq_f32_e64 s[2:3], 0, v16
	s_or_b64 s[2:3], vcc, s[2:3]
	s_and_saveexec_b64 s[28:29], s[2:3]
	s_xor_b64 s[2:3], exec, s[28:29]
	s_cbranch_execz .LBB26_14
; %bb.21:                               ;   in Loop: Header=BB26_15 Depth=1
	v_mul_f32_e32 v11, v16, v16
	v_fmac_f32_e32 v11, v15, v15
	v_div_scale_f32 v8, s[26:27], v11, v11, 1.0
	v_div_scale_f32 v26, vcc, 1.0, v11, 1.0
	v_add_u32_e32 v7, 1, v7
	v_rcp_f32_e32 v27, v8
	v_fma_f32 v28, -v8, v27, 1.0
	v_fmac_f32_e32 v27, v28, v27
	v_mul_f32_e32 v28, v26, v27
	v_fma_f32 v29, -v8, v28, v26
	v_fmac_f32_e32 v28, v29, v27
	v_fma_f32 v8, -v8, v28, v26
	v_div_fmas_f32 v26, v8, v27, v28
	v_mul_f32_e32 v27, v10, v16
	v_mul_f32_e64 v16, v16, -v9
	v_add_u32_e32 v8, v18, v14
	v_fmac_f32_e32 v27, v9, v15
	v_fmac_f32_e32 v16, v10, v15
	v_cmp_lt_i32_e32 vcc, v8, v25
	v_div_fixup_f32 v9, v26, v11, 1.0
	v_mul_f32_e32 v10, v27, v9
	v_mul_f32_e32 v11, v16, v9
	global_store_dwordx2 v[12:13], v[10:11], off
	s_and_saveexec_b64 s[26:27], vcc
	s_cbranch_execz .LBB26_13
; %bb.22:                               ;   in Loop: Header=BB26_15 Depth=1
	s_mov_b64 s[28:29], 0
	v_mov_b32_e32 v12, v7
	s_branch .LBB26_24
.LBB26_23:                              ;   in Loop: Header=BB26_24 Depth=2
	s_or_b64 exec, exec, s[30:31]
	v_add_u32_e32 v8, 64, v8
	v_cmp_ge_i32_e32 vcc, v8, v25
	s_or_b64 s[28:29], vcc, s[28:29]
	s_andn2_b64 exec, exec, s[28:29]
	s_cbranch_execz .LBB26_13
.LBB26_24:                              ;   Parent Loop BB26_15 Depth=1
                                        ; =>  This Loop Header: Depth=2
                                        ;       Child Loop BB26_26 Depth 3
	v_ashrrev_i32_e32 v9, 31, v8
	v_lshlrev_b64 v[13:14], 2, v[8:9]
	v_add_u32_e32 v15, v12, v23
	v_mov_b32_e32 v16, s11
	v_add_co_u32_e32 v26, vcc, s10, v13
	v_ashrrev_i32_e32 v13, 1, v15
	v_addc_co_u32_e32 v27, vcc, v16, v14, vcc
	v_ashrrev_i32_e32 v14, 31, v13
	v_lshlrev_b64 v[14:15], 2, v[13:14]
	v_add_co_u32_e32 v28, vcc, s10, v14
	v_addc_co_u32_e32 v29, vcc, v16, v15, vcc
	global_load_dword v15, v[26:27], off
	global_load_dword v14, v[28:29], off
	v_cmp_lt_i32_e32 vcc, v12, v23
	s_and_saveexec_b64 s[30:31], vcc
	s_cbranch_execz .LBB26_28
; %bb.25:                               ;   in Loop: Header=BB26_24 Depth=2
	s_mov_b64 s[36:37], 0
	v_mov_b32_e32 v16, v23
.LBB26_26:                              ;   Parent Loop BB26_15 Depth=1
                                        ;     Parent Loop BB26_24 Depth=2
                                        ; =>    This Inner Loop Header: Depth=3
	v_add_u32_e32 v26, 1, v13
	s_waitcnt vmcnt(0)
	v_cmp_lt_i32_e32 vcc, v14, v15
	v_cndmask_b32_e32 v16, v13, v16, vcc
	v_cndmask_b32_e32 v12, v12, v26, vcc
	v_add_u32_e32 v13, v16, v12
	v_ashrrev_i32_e32 v13, 1, v13
	v_ashrrev_i32_e32 v14, 31, v13
	v_lshlrev_b64 v[26:27], 2, v[13:14]
	v_mov_b32_e32 v14, s11
	v_add_co_u32_e32 v26, vcc, s10, v26
	v_addc_co_u32_e32 v27, vcc, v14, v27, vcc
	global_load_dword v14, v[26:27], off
	v_cmp_ge_i32_e32 vcc, v12, v16
	s_or_b64 s[36:37], vcc, s[36:37]
	s_andn2_b64 exec, exec, s[36:37]
	s_cbranch_execnz .LBB26_26
; %bb.27:                               ;   in Loop: Header=BB26_24 Depth=2
	s_or_b64 exec, exec, s[36:37]
.LBB26_28:                              ;   in Loop: Header=BB26_24 Depth=2
	s_or_b64 exec, exec, s[30:31]
	s_waitcnt vmcnt(0)
	v_cmp_eq_u32_e32 vcc, v14, v15
	s_and_saveexec_b64 s[30:31], vcc
	s_cbranch_execz .LBB26_23
; %bb.29:                               ;   in Loop: Header=BB26_24 Depth=2
	v_lshlrev_b64 v[13:14], 3, v[8:9]
	v_mov_b32_e32 v9, s13
	v_add_co_u32_e32 v15, vcc, s12, v13
	v_ashrrev_i32_e32 v13, 31, v12
	v_addc_co_u32_e32 v16, vcc, v9, v14, vcc
	v_lshlrev_b64 v[13:14], 3, v[12:13]
	v_add_co_u32_e32 v13, vcc, s12, v13
	v_addc_co_u32_e32 v14, vcc, v9, v14, vcc
	global_load_dwordx2 v[26:27], v[15:16], off
	global_load_dwordx2 v[28:29], v[13:14], off
	s_waitcnt vmcnt(0)
	v_fma_f32 v15, -v10, v26, v28
	v_fma_f32 v9, -v11, v26, v29
	v_fmac_f32_e32 v15, v11, v27
	v_fma_f32 v16, -v10, v27, v9
	global_store_dwordx2 v[13:14], v[15:16], off
	s_branch .LBB26_23
.LBB26_30:
	s_or_b64 exec, exec, s[6:7]
	v_cmp_lt_i32_e32 vcc, -1, v6
	s_and_saveexec_b64 s[6:7], vcc
	s_cbranch_execz .LBB26_52
; %bb.31:
	v_mov_b32_e32 v7, 0
	v_lshlrev_b64 v[8:9], 3, v[6:7]
	v_mov_b32_e32 v6, s13
	v_add_co_u32_e32 v10, vcc, s12, v8
	v_addc_co_u32_e32 v11, vcc, v6, v9, vcc
	global_load_dwordx2 v[8:9], v[10:11], off
	s_waitcnt vmcnt(0)
	v_cmp_gt_f32_e32 vcc, 0, v8
	v_cndmask_b32_e64 v6, v8, -v8, vcc
	v_cmp_gt_f32_e32 vcc, 0, v9
	v_cndmask_b32_e64 v12, v9, -v9, vcc
	v_cmp_ngt_f32_e32 vcc, v6, v12
	s_and_saveexec_b64 s[2:3], vcc
	s_xor_b64 s[8:9], exec, s[2:3]
	s_cbranch_execz .LBB26_35
; %bb.32:
	v_cmp_neq_f32_e32 vcc, 0, v9
	s_and_saveexec_b64 s[10:11], vcc
	s_cbranch_execz .LBB26_34
; %bb.33:
	v_div_scale_f32 v7, s[2:3], v12, v12, v6
	v_div_scale_f32 v13, vcc, v6, v12, v6
	s_mov_b32 s2, 0xf800000
	v_rcp_f32_e32 v14, v7
	v_fma_f32 v15, -v7, v14, 1.0
	v_fmac_f32_e32 v14, v15, v14
	v_mul_f32_e32 v15, v13, v14
	v_fma_f32 v16, -v7, v15, v13
	v_fmac_f32_e32 v15, v16, v14
	v_fma_f32 v7, -v7, v15, v13
	v_div_fmas_f32 v7, v7, v14, v15
	v_mov_b32_e32 v13, 0x260
	v_div_fixup_f32 v6, v7, v12, v6
	v_fma_f32 v6, v6, v6, 1.0
	v_mul_f32_e32 v7, 0x4f800000, v6
	v_cmp_gt_f32_e32 vcc, s2, v6
	v_cndmask_b32_e32 v6, v6, v7, vcc
	v_sqrt_f32_e32 v7, v6
	v_add_u32_e32 v14, -1, v7
	v_add_u32_e32 v15, 1, v7
	v_fma_f32 v16, -v14, v7, v6
	v_fma_f32 v18, -v15, v7, v6
	v_cmp_ge_f32_e64 s[2:3], 0, v16
	v_cndmask_b32_e64 v7, v7, v14, s[2:3]
	v_cmp_lt_f32_e64 s[2:3], 0, v18
	v_cndmask_b32_e64 v7, v7, v15, s[2:3]
	v_mul_f32_e32 v14, 0x37800000, v7
	v_cndmask_b32_e32 v7, v7, v14, vcc
	v_cmp_class_f32_e32 vcc, v6, v13
	v_cndmask_b32_e32 v6, v7, v6, vcc
	v_mul_f32_e32 v7, v12, v6
.LBB26_34:
	s_or_b64 exec, exec, s[10:11]
                                        ; implicit-def: $vgpr6
                                        ; implicit-def: $vgpr12
.LBB26_35:
	s_andn2_saveexec_b64 s[8:9], s[8:9]
	s_cbranch_execz .LBB26_37
; %bb.36:
	v_div_scale_f32 v7, s[2:3], v6, v6, v12
	v_div_scale_f32 v13, vcc, v12, v6, v12
	s_mov_b32 s2, 0xf800000
	v_rcp_f32_e32 v14, v7
	v_fma_f32 v15, -v7, v14, 1.0
	v_fmac_f32_e32 v14, v15, v14
	v_mul_f32_e32 v15, v13, v14
	v_fma_f32 v16, -v7, v15, v13
	v_fmac_f32_e32 v15, v16, v14
	v_fma_f32 v7, -v7, v15, v13
	v_div_fmas_f32 v7, v7, v14, v15
	v_mov_b32_e32 v13, 0x260
	v_div_fixup_f32 v7, v7, v6, v12
	v_fma_f32 v7, v7, v7, 1.0
	v_mul_f32_e32 v12, 0x4f800000, v7
	v_cmp_gt_f32_e32 vcc, s2, v7
	v_cndmask_b32_e32 v7, v7, v12, vcc
	v_sqrt_f32_e32 v12, v7
	v_add_u32_e32 v14, -1, v12
	v_add_u32_e32 v15, 1, v12
	v_fma_f32 v16, -v14, v12, v7
	v_fma_f32 v18, -v15, v12, v7
	v_cmp_ge_f32_e64 s[2:3], 0, v16
	v_cndmask_b32_e64 v12, v12, v14, s[2:3]
	v_cmp_lt_f32_e64 s[2:3], 0, v18
	v_cndmask_b32_e64 v12, v12, v15, s[2:3]
	v_mul_f32_e32 v14, 0x37800000, v12
	v_cndmask_b32_e32 v12, v12, v14, vcc
	v_cmp_class_f32_e32 vcc, v7, v13
	v_cndmask_b32_e32 v7, v12, v7, vcc
	v_mul_f32_e32 v7, v6, v7
.LBB26_37:
	s_or_b64 exec, exec, s[8:9]
	v_cvt_f64_f32_e32 v[6:7], v7
	v_cmp_eq_u32_e64 s[2:3], 0, v0
	s_and_b64 vcc, exec, s[0:1]
	s_mov_b64 s[0:1], -1
	s_cbranch_vccnz .LBB26_41
; %bb.38:
	v_cvt_f64_f32_e32 v[12:13], v17
	s_cmp_eq_u64 s[24:25], 8
	s_cselect_b64 vcc, -1, 0
	v_cndmask_b32_e32 v4, v13, v4, vcc
	v_cndmask_b32_e32 v3, v12, v3, vcc
	v_cmp_ge_f64_e32 vcc, v[3:4], v[6:7]
	s_and_b64 s[8:9], s[2:3], vcc
	s_and_saveexec_b64 s[0:1], s[8:9]
	s_cbranch_execz .LBB26_40
; %bb.39:
	v_mov_b32_e32 v3, s33
	v_mov_b32_e32 v4, s35
	global_store_dwordx2 v[10:11], v[3:4], off
.LBB26_40:
	s_or_b64 exec, exec, s[0:1]
	s_mov_b64 s[0:1], 0
.LBB26_41:
	s_andn2_b64 vcc, exec, s[0:1]
	s_cbranch_vccnz .LBB26_52
; %bb.42:
	s_load_dwordx2 s[0:1], s[4:5], 0x48
	v_add_u32_e32 v3, s34, v5
	s_waitcnt lgkmcnt(0)
	v_cmp_ge_f64_e32 vcc, s[0:1], v[6:7]
	s_and_b64 s[4:5], s[2:3], vcc
	s_and_saveexec_b64 s[0:1], s[4:5]
	s_cbranch_execz .LBB26_47
; %bb.43:
	s_mov_b64 s[4:5], exec
	s_brev_b32 s8, -2
.LBB26_44:                              ; =>This Inner Loop Header: Depth=1
	s_ff1_i32_b64 s9, s[4:5]
	v_readlane_b32 s12, v3, s9
	s_lshl_b64 s[10:11], 1, s9
	s_min_i32 s8, s8, s12
	s_andn2_b64 s[4:5], s[4:5], s[10:11]
	s_cmp_lg_u64 s[4:5], 0
	s_cbranch_scc1 .LBB26_44
; %bb.45:
	v_mbcnt_lo_u32_b32 v4, exec_lo, 0
	v_mbcnt_hi_u32_b32 v4, exec_hi, v4
	v_cmp_eq_u32_e32 vcc, 0, v4
	s_and_saveexec_b64 s[4:5], vcc
	s_xor_b64 s[4:5], exec, s[4:5]
	s_cbranch_execz .LBB26_47
; %bb.46:
	v_mov_b32_e32 v4, 0
	v_mov_b32_e32 v5, s8
	global_atomic_smin v4, v5, s[22:23]
.LBB26_47:
	s_or_b64 exec, exec, s[0:1]
	v_cmp_eq_f32_e32 vcc, 0, v8
	v_cmp_eq_f32_e64 s[0:1], 0, v9
	s_and_b64 s[0:1], vcc, s[0:1]
	s_and_b64 s[0:1], s[2:3], s[0:1]
	s_and_b64 exec, exec, s[0:1]
	s_cbranch_execz .LBB26_52
; %bb.48:
	s_mov_b64 s[0:1], exec
	s_brev_b32 s2, -2
.LBB26_49:                              ; =>This Inner Loop Header: Depth=1
	s_ff1_i32_b64 s3, s[0:1]
	v_readlane_b32 s8, v3, s3
	s_lshl_b64 s[4:5], 1, s3
	s_min_i32 s2, s2, s8
	s_andn2_b64 s[0:1], s[0:1], s[4:5]
	s_cmp_lg_u64 s[0:1], 0
	s_cbranch_scc1 .LBB26_49
; %bb.50:
	v_mbcnt_lo_u32_b32 v3, exec_lo, 0
	v_mbcnt_hi_u32_b32 v3, exec_hi, v3
	v_cmp_eq_u32_e32 vcc, 0, v3
	s_and_saveexec_b64 s[0:1], vcc
	s_xor_b64 s[0:1], exec, s[0:1]
	s_cbranch_execz .LBB26_52
; %bb.51:
	v_mov_b32_e32 v3, 0
	v_mov_b32_e32 v4, s2
	global_atomic_smin v3, v4, s[20:21]
.LBB26_52:
	s_or_b64 exec, exec, s[6:7]
	v_cmp_eq_u32_e32 vcc, 0, v0
	s_waitcnt vmcnt(0)
	buffer_wbinvl1_vol
	s_and_b64 exec, exec, vcc
	s_cbranch_execz .LBB26_54
; %bb.53:
	v_mov_b32_e32 v3, s17
	v_add_co_u32_e32 v0, vcc, s16, v1
	v_addc_co_u32_e32 v1, vcc, v3, v2, vcc
	v_mov_b32_e32 v2, 1
	global_store_dword v[0:1], v2, off
.LBB26_54:
	s_endpgm
	.section	.rodata,"a",@progbits
	.p2align	6, 0x0
	.amdhsa_kernel _ZN9rocsparseL17csrilu0_binsearchILj256ELj64ELb1E21rocsparse_complex_numIfEEEviPKiS4_PT2_S4_PiS4_S7_S7_d21rocsparse_index_base_imNS_24const_host_device_scalarIfEENS9_IdEENS9_IS5_EEb
		.amdhsa_group_segment_fixed_size 0
		.amdhsa_private_segment_fixed_size 0
		.amdhsa_kernarg_size 124
		.amdhsa_user_sgpr_count 6
		.amdhsa_user_sgpr_private_segment_buffer 1
		.amdhsa_user_sgpr_dispatch_ptr 0
		.amdhsa_user_sgpr_queue_ptr 0
		.amdhsa_user_sgpr_kernarg_segment_ptr 1
		.amdhsa_user_sgpr_dispatch_id 0
		.amdhsa_user_sgpr_flat_scratch_init 0
		.amdhsa_user_sgpr_private_segment_size 0
		.amdhsa_uses_dynamic_stack 0
		.amdhsa_system_sgpr_private_segment_wavefront_offset 0
		.amdhsa_system_sgpr_workgroup_id_x 1
		.amdhsa_system_sgpr_workgroup_id_y 0
		.amdhsa_system_sgpr_workgroup_id_z 0
		.amdhsa_system_sgpr_workgroup_info 0
		.amdhsa_system_vgpr_workitem_id 0
		.amdhsa_next_free_vgpr 30
		.amdhsa_next_free_sgpr 38
		.amdhsa_reserve_vcc 1
		.amdhsa_reserve_flat_scratch 0
		.amdhsa_float_round_mode_32 0
		.amdhsa_float_round_mode_16_64 0
		.amdhsa_float_denorm_mode_32 3
		.amdhsa_float_denorm_mode_16_64 3
		.amdhsa_dx10_clamp 1
		.amdhsa_ieee_mode 1
		.amdhsa_fp16_overflow 0
		.amdhsa_exception_fp_ieee_invalid_op 0
		.amdhsa_exception_fp_denorm_src 0
		.amdhsa_exception_fp_ieee_div_zero 0
		.amdhsa_exception_fp_ieee_overflow 0
		.amdhsa_exception_fp_ieee_underflow 0
		.amdhsa_exception_fp_ieee_inexact 0
		.amdhsa_exception_int_div_zero 0
	.end_amdhsa_kernel
	.section	.text._ZN9rocsparseL17csrilu0_binsearchILj256ELj64ELb1E21rocsparse_complex_numIfEEEviPKiS4_PT2_S4_PiS4_S7_S7_d21rocsparse_index_base_imNS_24const_host_device_scalarIfEENS9_IdEENS9_IS5_EEb,"axG",@progbits,_ZN9rocsparseL17csrilu0_binsearchILj256ELj64ELb1E21rocsparse_complex_numIfEEEviPKiS4_PT2_S4_PiS4_S7_S7_d21rocsparse_index_base_imNS_24const_host_device_scalarIfEENS9_IdEENS9_IS5_EEb,comdat
.Lfunc_end26:
	.size	_ZN9rocsparseL17csrilu0_binsearchILj256ELj64ELb1E21rocsparse_complex_numIfEEEviPKiS4_PT2_S4_PiS4_S7_S7_d21rocsparse_index_base_imNS_24const_host_device_scalarIfEENS9_IdEENS9_IS5_EEb, .Lfunc_end26-_ZN9rocsparseL17csrilu0_binsearchILj256ELj64ELb1E21rocsparse_complex_numIfEEEviPKiS4_PT2_S4_PiS4_S7_S7_d21rocsparse_index_base_imNS_24const_host_device_scalarIfEENS9_IdEENS9_IS5_EEb
                                        ; -- End function
	.set _ZN9rocsparseL17csrilu0_binsearchILj256ELj64ELb1E21rocsparse_complex_numIfEEEviPKiS4_PT2_S4_PiS4_S7_S7_d21rocsparse_index_base_imNS_24const_host_device_scalarIfEENS9_IdEENS9_IS5_EEb.num_vgpr, 30
	.set _ZN9rocsparseL17csrilu0_binsearchILj256ELj64ELb1E21rocsparse_complex_numIfEEEviPKiS4_PT2_S4_PiS4_S7_S7_d21rocsparse_index_base_imNS_24const_host_device_scalarIfEENS9_IdEENS9_IS5_EEb.num_agpr, 0
	.set _ZN9rocsparseL17csrilu0_binsearchILj256ELj64ELb1E21rocsparse_complex_numIfEEEviPKiS4_PT2_S4_PiS4_S7_S7_d21rocsparse_index_base_imNS_24const_host_device_scalarIfEENS9_IdEENS9_IS5_EEb.numbered_sgpr, 38
	.set _ZN9rocsparseL17csrilu0_binsearchILj256ELj64ELb1E21rocsparse_complex_numIfEEEviPKiS4_PT2_S4_PiS4_S7_S7_d21rocsparse_index_base_imNS_24const_host_device_scalarIfEENS9_IdEENS9_IS5_EEb.num_named_barrier, 0
	.set _ZN9rocsparseL17csrilu0_binsearchILj256ELj64ELb1E21rocsparse_complex_numIfEEEviPKiS4_PT2_S4_PiS4_S7_S7_d21rocsparse_index_base_imNS_24const_host_device_scalarIfEENS9_IdEENS9_IS5_EEb.private_seg_size, 0
	.set _ZN9rocsparseL17csrilu0_binsearchILj256ELj64ELb1E21rocsparse_complex_numIfEEEviPKiS4_PT2_S4_PiS4_S7_S7_d21rocsparse_index_base_imNS_24const_host_device_scalarIfEENS9_IdEENS9_IS5_EEb.uses_vcc, 1
	.set _ZN9rocsparseL17csrilu0_binsearchILj256ELj64ELb1E21rocsparse_complex_numIfEEEviPKiS4_PT2_S4_PiS4_S7_S7_d21rocsparse_index_base_imNS_24const_host_device_scalarIfEENS9_IdEENS9_IS5_EEb.uses_flat_scratch, 0
	.set _ZN9rocsparseL17csrilu0_binsearchILj256ELj64ELb1E21rocsparse_complex_numIfEEEviPKiS4_PT2_S4_PiS4_S7_S7_d21rocsparse_index_base_imNS_24const_host_device_scalarIfEENS9_IdEENS9_IS5_EEb.has_dyn_sized_stack, 0
	.set _ZN9rocsparseL17csrilu0_binsearchILj256ELj64ELb1E21rocsparse_complex_numIfEEEviPKiS4_PT2_S4_PiS4_S7_S7_d21rocsparse_index_base_imNS_24const_host_device_scalarIfEENS9_IdEENS9_IS5_EEb.has_recursion, 0
	.set _ZN9rocsparseL17csrilu0_binsearchILj256ELj64ELb1E21rocsparse_complex_numIfEEEviPKiS4_PT2_S4_PiS4_S7_S7_d21rocsparse_index_base_imNS_24const_host_device_scalarIfEENS9_IdEENS9_IS5_EEb.has_indirect_call, 0
	.section	.AMDGPU.csdata,"",@progbits
; Kernel info:
; codeLenInByte = 2176
; TotalNumSgprs: 42
; NumVgprs: 30
; ScratchSize: 0
; MemoryBound: 0
; FloatMode: 240
; IeeeMode: 1
; LDSByteSize: 0 bytes/workgroup (compile time only)
; SGPRBlocks: 5
; VGPRBlocks: 7
; NumSGPRsForWavesPerEU: 42
; NumVGPRsForWavesPerEU: 30
; Occupancy: 8
; WaveLimiterHint : 1
; COMPUTE_PGM_RSRC2:SCRATCH_EN: 0
; COMPUTE_PGM_RSRC2:USER_SGPR: 6
; COMPUTE_PGM_RSRC2:TRAP_HANDLER: 0
; COMPUTE_PGM_RSRC2:TGID_X_EN: 1
; COMPUTE_PGM_RSRC2:TGID_Y_EN: 0
; COMPUTE_PGM_RSRC2:TGID_Z_EN: 0
; COMPUTE_PGM_RSRC2:TIDIG_COMP_CNT: 0
	.section	.text._ZN9rocsparseL12csrilu0_hashILj256ELj32ELj1E21rocsparse_complex_numIfEEEviPKiS4_PT2_S4_PiS4_S7_S7_d21rocsparse_index_base_imNS_24const_host_device_scalarIfEENS9_IdEENS9_IS5_EEb,"axG",@progbits,_ZN9rocsparseL12csrilu0_hashILj256ELj32ELj1E21rocsparse_complex_numIfEEEviPKiS4_PT2_S4_PiS4_S7_S7_d21rocsparse_index_base_imNS_24const_host_device_scalarIfEENS9_IdEENS9_IS5_EEb,comdat
	.globl	_ZN9rocsparseL12csrilu0_hashILj256ELj32ELj1E21rocsparse_complex_numIfEEEviPKiS4_PT2_S4_PiS4_S7_S7_d21rocsparse_index_base_imNS_24const_host_device_scalarIfEENS9_IdEENS9_IS5_EEb ; -- Begin function _ZN9rocsparseL12csrilu0_hashILj256ELj32ELj1E21rocsparse_complex_numIfEEEviPKiS4_PT2_S4_PiS4_S7_S7_d21rocsparse_index_base_imNS_24const_host_device_scalarIfEENS9_IdEENS9_IS5_EEb
	.p2align	8
	.type	_ZN9rocsparseL12csrilu0_hashILj256ELj32ELj1E21rocsparse_complex_numIfEEEviPKiS4_PT2_S4_PiS4_S7_S7_d21rocsparse_index_base_imNS_24const_host_device_scalarIfEENS9_IdEENS9_IS5_EEb,@function
_ZN9rocsparseL12csrilu0_hashILj256ELj32ELj1E21rocsparse_complex_numIfEEEviPKiS4_PT2_S4_PiS4_S7_S7_d21rocsparse_index_base_imNS_24const_host_device_scalarIfEENS9_IdEENS9_IS5_EEb: ; @_ZN9rocsparseL12csrilu0_hashILj256ELj32ELj1E21rocsparse_complex_numIfEEEviPKiS4_PT2_S4_PiS4_S7_S7_d21rocsparse_index_base_imNS_24const_host_device_scalarIfEENS9_IdEENS9_IS5_EEb
; %bb.0:
	s_load_dword s0, s[4:5], 0x78
	s_load_dwordx2 s[34:35], s[4:5], 0x50
	s_load_dwordx8 s[24:31], s[4:5], 0x58
	s_waitcnt lgkmcnt(0)
	s_bitcmp1_b32 s0, 0
	s_cselect_b64 s[2:3], -1, 0
	s_cmp_eq_u32 s35, 0
	s_cselect_b64 s[12:13], -1, 0
	s_cmp_lg_u32 s35, 0
	s_cselect_b64 s[8:9], -1, 0
	s_or_b64 s[14:15], s[12:13], s[2:3]
	s_xor_b64 s[0:1], s[14:15], -1
	s_and_b64 s[10:11], s[12:13], exec
	s_cselect_b32 s11, 0, s29
	s_cselect_b32 s10, 0, s28
	s_and_b64 vcc, exec, s[14:15]
	s_cbranch_vccnz .LBB27_2
; %bb.1:
	s_load_dword s7, s[26:27], 0x0
	s_mov_b64 s[10:11], s[28:29]
	s_waitcnt lgkmcnt(0)
	v_mov_b32_e32 v17, s7
	v_mov_b32_e32 v2, s10
	s_andn2_b64 vcc, exec, s[0:1]
	v_mov_b32_e32 v3, s11
	s_cbranch_vccz .LBB27_3
	s_branch .LBB27_4
.LBB27_2:
	v_mov_b32_e32 v1, s26
	v_cndmask_b32_e64 v17, v1, 0, s[12:13]
	v_mov_b32_e32 v2, s10
	s_andn2_b64 vcc, exec, s[0:1]
	v_mov_b32_e32 v3, s11
	s_cbranch_vccnz .LBB27_4
.LBB27_3:
	v_mov_b32_e32 v1, s28
	v_mov_b32_e32 v2, s29
	flat_load_dwordx2 v[2:3], v[1:2]
.LBB27_4:
	v_cndmask_b32_e64 v1, 0, 1, s[8:9]
	s_mov_b32 s33, 0
	v_cmp_ne_u32_e64 s[0:1], 1, v1
	s_andn2_b64 vcc, exec, s[8:9]
	s_mov_b32 s35, 0
	s_cbranch_vccnz .LBB27_10
; %bb.5:
	s_xor_b64 s[8:9], s[2:3], -1
	v_cndmask_b32_e64 v1, 0, 1, s[8:9]
	v_cmp_ne_u32_e64 s[2:3], 1, v1
	s_andn2_b64 vcc, exec, s[8:9]
	s_mov_b32 s33, s30
	s_cbranch_vccnz .LBB27_7
; %bb.6:
	s_load_dword s33, s[30:31], 0x0
.LBB27_7:
	s_and_b64 vcc, exec, s[2:3]
	s_cbranch_vccnz .LBB27_9
; %bb.8:
	s_load_dword s31, s[30:31], 0x4
.LBB27_9:
	s_waitcnt lgkmcnt(0)
	s_mov_b32 s35, s31
.LBB27_10:
	s_load_dword s2, s[4:5], 0x0
	s_lshl_b32 s3, s6, 3
	v_and_b32_e32 v16, 31, v0
	v_and_b32_e32 v6, 0xe0, v0
	v_mov_b32_e32 v1, 0x400
	v_lshrrev_b32_e32 v0, 5, v0
	s_and_b32 s3, s3, 0x7fffff8
	v_lshl_or_b32 v18, v6, 2, v1
	v_or_b32_e32 v0, s3, v0
	v_lshl_or_b32 v1, v16, 2, v18
	v_mov_b32_e32 v4, -1
	s_waitcnt lgkmcnt(0)
	v_cmp_gt_i32_e32 vcc, s2, v0
	ds_write_b32 v1, v4
	s_waitcnt lgkmcnt(0)
	s_and_saveexec_b64 s[2:3], vcc
	s_cbranch_execz .LBB27_88
; %bb.11:
	s_load_dwordx16 s[8:23], s[4:5], 0x8
	v_lshlrev_b32_e32 v0, 2, v0
	v_lshlrev_b32_e32 v19, 2, v6
	s_waitcnt lgkmcnt(0)
	global_load_dword v4, v0, s[18:19]
	v_mov_b32_e32 v8, s9
	v_mov_b32_e32 v10, s15
	s_waitcnt vmcnt(0)
	v_ashrrev_i32_e32 v5, 31, v4
	v_lshlrev_b64 v[0:1], 2, v[4:5]
	v_add_co_u32_e32 v7, vcc, s8, v0
	v_addc_co_u32_e32 v8, vcc, v8, v1, vcc
	global_load_dwordx2 v[7:8], v[7:8], off
	v_add_co_u32_e32 v9, vcc, s14, v0
	v_addc_co_u32_e32 v10, vcc, v10, v1, vcc
	global_load_dword v5, v[9:10], off
	s_waitcnt vmcnt(1)
	v_subrev_u32_e32 v6, s34, v7
	v_subrev_u32_e32 v9, s34, v8
	v_add_u32_e32 v7, v6, v16
	v_cmp_lt_i32_e32 vcc, v7, v9
	s_and_saveexec_b64 s[2:3], vcc
	s_cbranch_execz .LBB27_34
; %bb.12:
	s_mov_b64 s[6:7], 0
	v_mov_b32_e32 v10, s11
	v_mov_b32_e32 v11, -1
	s_branch .LBB27_14
.LBB27_13:                              ;   in Loop: Header=BB27_14 Depth=1
	s_or_b64 exec, exec, s[18:19]
	v_add_u32_e32 v7, 32, v7
	v_cmp_ge_i32_e32 vcc, v7, v9
	s_or_b64 s[6:7], vcc, s[6:7]
	s_andn2_b64 exec, exec, s[6:7]
	s_cbranch_execz .LBB27_34
.LBB27_14:                              ; =>This Loop Header: Depth=1
                                        ;     Child Loop BB27_23 Depth 2
	v_ashrrev_i32_e32 v8, 31, v7
	v_lshlrev_b64 v[12:13], 2, v[7:8]
	s_mov_b64 s[26:27], 0
	v_add_co_u32_e32 v12, vcc, s10, v12
	v_addc_co_u32_e32 v13, vcc, v10, v13, vcc
	global_load_dword v8, v[12:13], off
	v_mov_b32_e32 v12, 32
                                        ; implicit-def: $sgpr18_sgpr19
                                        ; implicit-def: $sgpr28_sgpr29
                                        ; implicit-def: $sgpr30_sgpr31
	s_waitcnt vmcnt(0)
	v_mul_lo_u32 v14, v8, 7
	s_branch .LBB27_23
.LBB27_15:                              ;   in Loop: Header=BB27_23 Depth=2
	s_or_b64 exec, exec, s[54:55]
	s_orn2_b64 s[50:51], s[50:51], exec
	s_orn2_b64 s[52:53], s[52:53], exec
.LBB27_16:                              ;   in Loop: Header=BB27_23 Depth=2
	s_or_b64 exec, exec, s[48:49]
	s_and_b64 s[50:51], s[50:51], exec
	s_orn2_b64 s[48:49], s[52:53], exec
.LBB27_17:                              ;   in Loop: Header=BB27_23 Depth=2
	s_or_b64 exec, exec, s[46:47]
	s_orn2_b64 s[50:51], s[50:51], exec
	s_orn2_b64 s[46:47], s[48:49], exec
.LBB27_18:                              ;   in Loop: Header=BB27_23 Depth=2
	s_or_b64 exec, exec, s[44:45]
	s_and_b64 s[48:49], s[50:51], exec
	s_orn2_b64 s[44:45], s[46:47], exec
.LBB27_19:                              ;   in Loop: Header=BB27_23 Depth=2
	s_or_b64 exec, exec, s[42:43]
	s_orn2_b64 s[42:43], s[48:49], exec
	s_orn2_b64 s[44:45], s[44:45], exec
.LBB27_20:                              ;   in Loop: Header=BB27_23 Depth=2
	s_or_b64 exec, exec, s[40:41]
	s_and_b64 s[42:43], s[42:43], exec
	s_orn2_b64 s[40:41], s[44:45], exec
.LBB27_21:                              ;   in Loop: Header=BB27_23 Depth=2
	s_or_b64 exec, exec, s[38:39]
	s_andn2_b64 s[30:31], s[30:31], exec
	s_and_b64 s[38:39], s[42:43], exec
	s_or_b64 s[30:31], s[30:31], s[38:39]
	s_andn2_b64 s[28:29], s[28:29], exec
	s_and_b64 s[38:39], s[40:41], exec
	s_or_b64 s[28:29], s[28:29], s[38:39]
.LBB27_22:                              ;   in Loop: Header=BB27_23 Depth=2
	s_or_b64 exec, exec, s[36:37]
	s_and_b64 s[36:37], exec, s[28:29]
	s_or_b64 s[26:27], s[36:37], s[26:27]
	s_andn2_b64 s[18:19], s[18:19], exec
	s_and_b64 s[36:37], s[30:31], exec
	s_or_b64 s[18:19], s[18:19], s[36:37]
	s_andn2_b64 exec, exec, s[26:27]
	s_cbranch_execz .LBB27_32
.LBB27_23:                              ;   Parent Loop BB27_14 Depth=1
                                        ; =>  This Inner Loop Header: Depth=2
	v_and_b32_e32 v13, 31, v14
	v_lshl_add_u32 v15, v13, 2, v18
	ds_read_b32 v20, v15
	s_or_b64 s[30:31], s[30:31], exec
	s_or_b64 s[28:29], s[28:29], exec
	s_waitcnt lgkmcnt(0)
	v_cmp_ne_u32_e32 vcc, v20, v8
	s_and_saveexec_b64 s[36:37], vcc
	s_cbranch_execz .LBB27_22
; %bb.24:                               ;   in Loop: Header=BB27_23 Depth=2
	ds_cmpst_rtn_b32 v15, v15, v11, v8
	s_mov_b64 s[40:41], -1
	s_mov_b64 s[42:43], 0
	s_waitcnt lgkmcnt(0)
	v_cmp_ne_u32_e32 vcc, -1, v15
	s_and_saveexec_b64 s[38:39], vcc
	s_cbranch_execz .LBB27_21
; %bb.25:                               ;   in Loop: Header=BB27_23 Depth=2
	v_add_u32_e32 v13, 1, v14
	v_and_b32_e32 v13, 31, v13
	v_lshl_add_u32 v15, v13, 2, v18
	ds_read_b32 v20, v15
	s_mov_b64 s[44:45], -1
	s_mov_b64 s[42:43], -1
	s_waitcnt lgkmcnt(0)
	v_cmp_ne_u32_e32 vcc, v20, v8
	s_and_saveexec_b64 s[40:41], vcc
	s_cbranch_execz .LBB27_20
; %bb.26:                               ;   in Loop: Header=BB27_23 Depth=2
	ds_cmpst_rtn_b32 v15, v15, v11, v8
	s_mov_b64 s[48:49], 0
	s_waitcnt lgkmcnt(0)
	v_cmp_ne_u32_e32 vcc, -1, v15
	s_and_saveexec_b64 s[42:43], vcc
	s_cbranch_execz .LBB27_19
; %bb.27:                               ;   in Loop: Header=BB27_23 Depth=2
	v_add_u32_e32 v13, 2, v14
	v_and_b32_e32 v13, 31, v13
	v_lshl_add_u32 v15, v13, 2, v18
	ds_read_b32 v20, v15
	s_mov_b64 s[46:47], -1
	s_mov_b64 s[50:51], -1
	s_waitcnt lgkmcnt(0)
	v_cmp_ne_u32_e32 vcc, v20, v8
	s_and_saveexec_b64 s[44:45], vcc
	s_cbranch_execz .LBB27_18
; %bb.28:                               ;   in Loop: Header=BB27_23 Depth=2
	ds_cmpst_rtn_b32 v15, v15, v11, v8
	s_mov_b64 s[48:49], -1
	s_mov_b64 s[50:51], 0
	s_waitcnt lgkmcnt(0)
	v_cmp_ne_u32_e32 vcc, -1, v15
	s_and_saveexec_b64 s[46:47], vcc
	s_cbranch_execz .LBB27_17
; %bb.29:                               ;   in Loop: Header=BB27_23 Depth=2
	v_add_u32_e32 v13, 3, v14
	v_and_b32_e32 v13, 31, v13
	v_lshl_add_u32 v15, v13, 2, v18
	ds_read_b32 v14, v15
	s_mov_b64 s[52:53], -1
	s_mov_b64 s[50:51], -1
	s_waitcnt lgkmcnt(0)
	v_cmp_ne_u32_e32 vcc, v14, v8
                                        ; implicit-def: $vgpr14
	s_and_saveexec_b64 s[48:49], vcc
	s_cbranch_execz .LBB27_16
; %bb.30:                               ;   in Loop: Header=BB27_23 Depth=2
	ds_cmpst_rtn_b32 v14, v15, v11, v8
	s_mov_b64 s[50:51], 0
	s_waitcnt lgkmcnt(0)
	v_cmp_ne_u32_e32 vcc, -1, v14
                                        ; implicit-def: $vgpr14
	s_and_saveexec_b64 s[54:55], vcc
	s_cbranch_execz .LBB27_15
; %bb.31:                               ;   in Loop: Header=BB27_23 Depth=2
	v_add_u32_e32 v12, -4, v12
	v_cmp_eq_u32_e32 vcc, 0, v12
	s_mov_b64 s[50:51], exec
	v_add_u32_e32 v14, 1, v13
	s_orn2_b64 s[52:53], vcc, exec
	s_branch .LBB27_15
.LBB27_32:                              ;   in Loop: Header=BB27_14 Depth=1
	s_or_b64 exec, exec, s[26:27]
	s_xor_b64 s[18:19], s[18:19], -1
	s_and_saveexec_b64 s[26:27], s[18:19]
	s_xor_b64 s[18:19], exec, s[26:27]
	s_cbranch_execz .LBB27_13
; %bb.33:                               ;   in Loop: Header=BB27_14 Depth=1
	v_lshl_add_u32 v8, v13, 2, v19
	ds_write_b32 v8, v7
	s_branch .LBB27_13
.LBB27_34:
	s_or_b64 exec, exec, s[2:3]
	s_waitcnt vmcnt(0)
	v_cmp_lt_i32_e32 vcc, v6, v5
	s_waitcnt lgkmcnt(0)
	s_and_saveexec_b64 s[6:7], vcc
	s_cbranch_execz .LBB27_64
; %bb.35:
	v_add_u32_e32 v20, 1, v16
	s_mov_b64 s[18:19], 0
	v_mov_b32_e32 v21, s11
	v_mov_b32_e32 v22, s13
	;; [unrolled: 1-line block ×5, first 2 shown]
	s_branch .LBB27_38
.LBB27_36:                              ;   in Loop: Header=BB27_38 Depth=1
	s_or_b64 exec, exec, s[26:27]
	v_add_u32_e32 v6, 1, v6
	v_cmp_ge_i32_e32 vcc, v6, v5
	s_orn2_b64 s[26:27], vcc, exec
.LBB27_37:                              ;   in Loop: Header=BB27_38 Depth=1
	s_or_b64 exec, exec, s[2:3]
	s_and_b64 s[2:3], exec, s[26:27]
	s_or_b64 s[18:19], s[2:3], s[18:19]
	s_andn2_b64 exec, exec, s[18:19]
	s_cbranch_execz .LBB27_64
.LBB27_38:                              ; =>This Loop Header: Depth=1
                                        ;     Child Loop BB27_39 Depth 2
                                        ;     Child Loop BB27_44 Depth 2
                                        ;       Child Loop BB27_53 Depth 3
	v_ashrrev_i32_e32 v7, 31, v6
	v_lshlrev_b64 v[8:9], 2, v[6:7]
	s_mov_b64 s[2:3], 0
	v_add_co_u32_e32 v8, vcc, s10, v8
	v_addc_co_u32_e32 v9, vcc, v21, v9, vcc
	global_load_dword v10, v[8:9], off
	v_lshlrev_b64 v[7:8], 3, v[6:7]
	v_add_co_u32_e32 v11, vcc, s12, v7
	v_addc_co_u32_e32 v12, vcc, v22, v8, vcc
	global_load_dwordx2 v[8:9], v[11:12], off
	s_waitcnt vmcnt(1)
	v_subrev_u32_e32 v13, s34, v10
	v_ashrrev_i32_e32 v14, 31, v13
	v_lshlrev_b64 v[13:14], 2, v[13:14]
	v_add_co_u32_e32 v26, vcc, s8, v13
	v_addc_co_u32_e32 v27, vcc, v23, v14, vcc
	v_add_co_u32_e32 v28, vcc, s14, v13
	v_addc_co_u32_e32 v29, vcc, v24, v14, vcc
	global_load_dword v7, v[26:27], off offset:4
	global_load_dword v10, v[28:29], off
	v_add_co_u32_e32 v13, vcc, s16, v13
	v_addc_co_u32_e32 v14, vcc, v25, v14, vcc
.LBB27_39:                              ;   Parent Loop BB27_38 Depth=1
                                        ; =>  This Inner Loop Header: Depth=2
	global_load_dword v15, v[13:14], off glc
	s_waitcnt vmcnt(0)
	v_cmp_ne_u32_e32 vcc, 0, v15
	s_or_b64 s[2:3], vcc, s[2:3]
	s_andn2_b64 exec, exec, s[2:3]
	s_cbranch_execnz .LBB27_39
; %bb.40:                               ;   in Loop: Header=BB27_38 Depth=1
	s_or_b64 exec, exec, s[2:3]
	v_subrev_u32_e32 v26, s34, v7
	v_add_u32_e32 v7, -1, v26
	v_cmp_eq_u32_e32 vcc, -1, v10
	v_cndmask_b32_e32 v13, v10, v7, vcc
	v_ashrrev_i32_e32 v14, 31, v13
	v_lshlrev_b64 v[14:15], 3, v[13:14]
	buffer_wbinvl1_vol
	v_add_co_u32_e32 v14, vcc, s12, v14
	v_addc_co_u32_e32 v15, vcc, v22, v15, vcc
	global_load_dwordx2 v[14:15], v[14:15], off
	s_mov_b64 s[26:27], -1
	s_waitcnt vmcnt(0)
	v_cmp_neq_f32_e32 vcc, 0, v14
	v_cmp_neq_f32_e64 s[2:3], 0, v15
	s_or_b64 s[28:29], vcc, s[2:3]
	s_and_saveexec_b64 s[2:3], s[28:29]
	s_cbranch_execz .LBB27_37
; %bb.41:                               ;   in Loop: Header=BB27_38 Depth=1
	v_mul_f32_e32 v10, v15, v15
	v_fmac_f32_e32 v10, v14, v14
	v_div_scale_f32 v7, s[26:27], v10, v10, 1.0
	v_div_scale_f32 v27, vcc, 1.0, v10, 1.0
	v_rcp_f32_e32 v28, v7
	v_fma_f32 v29, -v7, v28, 1.0
	v_fmac_f32_e32 v28, v29, v28
	v_mul_f32_e32 v29, v27, v28
	v_fma_f32 v30, -v7, v29, v27
	v_fmac_f32_e32 v29, v30, v28
	v_fma_f32 v7, -v7, v29, v27
	v_div_fmas_f32 v27, v7, v28, v29
	v_mul_f32_e32 v28, v9, v15
	v_mul_f32_e64 v15, v15, -v8
	v_add_u32_e32 v7, v20, v13
	v_fmac_f32_e32 v28, v8, v14
	v_fmac_f32_e32 v15, v9, v14
	v_cmp_lt_i32_e32 vcc, v7, v26
	v_div_fixup_f32 v8, v27, v10, 1.0
	v_mul_f32_e32 v9, v28, v8
	v_mul_f32_e32 v10, v15, v8
	global_store_dwordx2 v[11:12], v[9:10], off
	s_and_saveexec_b64 s[26:27], vcc
	s_cbranch_execz .LBB27_36
; %bb.42:                               ;   in Loop: Header=BB27_38 Depth=1
	s_mov_b64 s[28:29], 0
	s_branch .LBB27_44
.LBB27_43:                              ;   in Loop: Header=BB27_44 Depth=2
	s_or_b64 exec, exec, s[30:31]
	v_add_u32_e32 v7, 32, v7
	v_cmp_ge_i32_e32 vcc, v7, v26
	s_or_b64 s[28:29], vcc, s[28:29]
	s_andn2_b64 exec, exec, s[28:29]
	s_cbranch_execz .LBB27_36
.LBB27_44:                              ;   Parent Loop BB27_38 Depth=1
                                        ; =>  This Loop Header: Depth=2
                                        ;       Child Loop BB27_53 Depth 3
	v_ashrrev_i32_e32 v8, 31, v7
	v_lshlrev_b64 v[11:12], 2, v[7:8]
	v_mov_b32_e32 v13, s11
	v_add_co_u32_e32 v11, vcc, s10, v11
	v_addc_co_u32_e32 v12, vcc, v13, v12, vcc
	global_load_dword v11, v[11:12], off
	v_mov_b32_e32 v12, 32
	s_mov_b64 s[36:37], 0
                                        ; implicit-def: $sgpr30_sgpr31
                                        ; implicit-def: $sgpr38_sgpr39
                                        ; implicit-def: $sgpr40_sgpr41
	s_waitcnt vmcnt(0)
	v_mul_lo_u32 v14, v11, 7
	s_branch .LBB27_53
.LBB27_45:                              ;   in Loop: Header=BB27_53 Depth=3
	s_or_b64 exec, exec, s[60:61]
	s_orn2_b64 s[56:57], s[56:57], exec
	s_orn2_b64 s[58:59], s[58:59], exec
.LBB27_46:                              ;   in Loop: Header=BB27_53 Depth=3
	s_or_b64 exec, exec, s[54:55]
	s_and_b64 s[56:57], s[56:57], exec
	s_orn2_b64 s[54:55], s[58:59], exec
.LBB27_47:                              ;   in Loop: Header=BB27_53 Depth=3
	s_or_b64 exec, exec, s[52:53]
	s_orn2_b64 s[56:57], s[56:57], exec
	s_orn2_b64 s[52:53], s[54:55], exec
.LBB27_48:                              ;   in Loop: Header=BB27_53 Depth=3
	s_or_b64 exec, exec, s[50:51]
	s_and_b64 s[54:55], s[56:57], exec
	s_orn2_b64 s[50:51], s[52:53], exec
.LBB27_49:                              ;   in Loop: Header=BB27_53 Depth=3
	s_or_b64 exec, exec, s[48:49]
	s_orn2_b64 s[48:49], s[54:55], exec
	s_orn2_b64 s[50:51], s[50:51], exec
.LBB27_50:                              ;   in Loop: Header=BB27_53 Depth=3
	s_or_b64 exec, exec, s[46:47]
	s_and_b64 s[48:49], s[48:49], exec
	s_orn2_b64 s[46:47], s[50:51], exec
.LBB27_51:                              ;   in Loop: Header=BB27_53 Depth=3
	s_or_b64 exec, exec, s[44:45]
	s_andn2_b64 s[40:41], s[40:41], exec
	s_and_b64 s[44:45], s[48:49], exec
	s_or_b64 s[40:41], s[40:41], s[44:45]
	s_andn2_b64 s[38:39], s[38:39], exec
	s_and_b64 s[44:45], s[46:47], exec
	s_or_b64 s[38:39], s[38:39], s[44:45]
.LBB27_52:                              ;   in Loop: Header=BB27_53 Depth=3
	s_or_b64 exec, exec, s[42:43]
	s_and_b64 s[42:43], exec, s[38:39]
	s_or_b64 s[36:37], s[42:43], s[36:37]
	s_andn2_b64 s[30:31], s[30:31], exec
	s_and_b64 s[42:43], s[40:41], exec
	s_or_b64 s[30:31], s[30:31], s[42:43]
	s_andn2_b64 exec, exec, s[36:37]
	s_cbranch_execz .LBB27_62
.LBB27_53:                              ;   Parent Loop BB27_38 Depth=1
                                        ;     Parent Loop BB27_44 Depth=2
                                        ; =>    This Inner Loop Header: Depth=3
	v_and_b32_e32 v13, 31, v14
	v_lshl_add_u32 v15, v13, 2, v18
	ds_read_b32 v15, v15
	s_or_b64 s[40:41], s[40:41], exec
	s_or_b64 s[38:39], s[38:39], exec
	s_waitcnt lgkmcnt(0)
	v_cmp_ne_u32_e32 vcc, -1, v15
	s_and_saveexec_b64 s[42:43], vcc
	s_cbranch_execz .LBB27_52
; %bb.54:                               ;   in Loop: Header=BB27_53 Depth=3
	v_cmp_ne_u32_e32 vcc, v15, v11
	s_mov_b64 s[46:47], -1
	s_mov_b64 s[48:49], 0
	s_and_saveexec_b64 s[44:45], vcc
	s_cbranch_execz .LBB27_51
; %bb.55:                               ;   in Loop: Header=BB27_53 Depth=3
	v_add_u32_e32 v13, 1, v14
	v_and_b32_e32 v13, 31, v13
	v_lshl_add_u32 v15, v13, 2, v18
	ds_read_b32 v15, v15
	s_mov_b64 s[50:51], -1
	s_mov_b64 s[48:49], -1
	s_waitcnt lgkmcnt(0)
	v_cmp_ne_u32_e32 vcc, -1, v15
	s_and_saveexec_b64 s[46:47], vcc
	s_cbranch_execz .LBB27_50
; %bb.56:                               ;   in Loop: Header=BB27_53 Depth=3
	v_cmp_ne_u32_e32 vcc, v15, v11
	s_mov_b64 s[54:55], 0
	s_and_saveexec_b64 s[48:49], vcc
	s_cbranch_execz .LBB27_49
; %bb.57:                               ;   in Loop: Header=BB27_53 Depth=3
	v_add_u32_e32 v13, 2, v14
	v_and_b32_e32 v13, 31, v13
	v_lshl_add_u32 v15, v13, 2, v18
	ds_read_b32 v15, v15
	s_mov_b64 s[52:53], -1
	s_mov_b64 s[56:57], -1
	s_waitcnt lgkmcnt(0)
	v_cmp_ne_u32_e32 vcc, -1, v15
	s_and_saveexec_b64 s[50:51], vcc
	s_cbranch_execz .LBB27_48
; %bb.58:                               ;   in Loop: Header=BB27_53 Depth=3
	v_cmp_ne_u32_e32 vcc, v15, v11
	s_mov_b64 s[54:55], -1
	s_mov_b64 s[56:57], 0
	s_and_saveexec_b64 s[52:53], vcc
	s_cbranch_execz .LBB27_47
; %bb.59:                               ;   in Loop: Header=BB27_53 Depth=3
	v_add_u32_e32 v13, 3, v14
	v_and_b32_e32 v13, 31, v13
	v_lshl_add_u32 v14, v13, 2, v18
	ds_read_b32 v15, v14
	s_mov_b64 s[58:59], -1
	s_mov_b64 s[56:57], -1
                                        ; implicit-def: $vgpr14
	s_waitcnt lgkmcnt(0)
	v_cmp_ne_u32_e32 vcc, -1, v15
	s_and_saveexec_b64 s[54:55], vcc
	s_cbranch_execz .LBB27_46
; %bb.60:                               ;   in Loop: Header=BB27_53 Depth=3
	v_cmp_ne_u32_e32 vcc, v15, v11
	s_mov_b64 s[56:57], 0
                                        ; implicit-def: $vgpr14
	s_and_saveexec_b64 s[60:61], vcc
	s_cbranch_execz .LBB27_45
; %bb.61:                               ;   in Loop: Header=BB27_53 Depth=3
	v_add_u32_e32 v12, -4, v12
	v_cmp_eq_u32_e32 vcc, 0, v12
	s_mov_b64 s[56:57], exec
	v_add_u32_e32 v14, 1, v13
	s_orn2_b64 s[58:59], vcc, exec
	s_branch .LBB27_45
.LBB27_62:                              ;   in Loop: Header=BB27_44 Depth=2
	s_or_b64 exec, exec, s[36:37]
	s_xor_b64 s[30:31], s[30:31], -1
	s_and_saveexec_b64 s[36:37], s[30:31]
	s_xor_b64 s[30:31], exec, s[36:37]
	s_cbranch_execz .LBB27_43
; %bb.63:                               ;   in Loop: Header=BB27_44 Depth=2
	v_lshl_add_u32 v11, v13, 2, v19
	ds_read_b32 v11, v11
	v_lshlrev_b64 v[13:14], 3, v[7:8]
	v_mov_b32_e32 v8, s13
	v_add_co_u32_e32 v13, vcc, s12, v13
	s_waitcnt lgkmcnt(0)
	v_ashrrev_i32_e32 v12, 31, v11
	v_lshlrev_b64 v[11:12], 3, v[11:12]
	v_addc_co_u32_e32 v14, vcc, v8, v14, vcc
	v_add_co_u32_e32 v11, vcc, s12, v11
	v_addc_co_u32_e32 v12, vcc, v8, v12, vcc
	global_load_dwordx2 v[27:28], v[13:14], off
	global_load_dwordx2 v[29:30], v[11:12], off
	s_waitcnt vmcnt(0)
	v_fma_f32 v13, -v9, v27, v29
	v_fma_f32 v8, -v10, v27, v30
	v_fmac_f32_e32 v13, v10, v28
	v_fma_f32 v14, -v9, v28, v8
	global_store_dwordx2 v[11:12], v[13:14], off
	s_branch .LBB27_43
.LBB27_64:
	s_or_b64 exec, exec, s[6:7]
	v_cmp_lt_i32_e32 vcc, -1, v5
	s_and_saveexec_b64 s[6:7], vcc
	s_cbranch_execz .LBB27_86
; %bb.65:
	v_mov_b32_e32 v6, 0
	v_lshlrev_b64 v[7:8], 3, v[5:6]
	v_mov_b32_e32 v5, s13
	v_add_co_u32_e32 v9, vcc, s12, v7
	v_addc_co_u32_e32 v10, vcc, v5, v8, vcc
	global_load_dwordx2 v[7:8], v[9:10], off
	s_waitcnt vmcnt(0)
	v_cmp_gt_f32_e32 vcc, 0, v7
	v_cndmask_b32_e64 v5, v7, -v7, vcc
	v_cmp_gt_f32_e32 vcc, 0, v8
	v_cndmask_b32_e64 v11, v8, -v8, vcc
	v_cmp_ngt_f32_e32 vcc, v5, v11
	s_and_saveexec_b64 s[2:3], vcc
	s_xor_b64 s[8:9], exec, s[2:3]
	s_cbranch_execz .LBB27_69
; %bb.66:
	v_cmp_neq_f32_e32 vcc, 0, v8
	s_and_saveexec_b64 s[10:11], vcc
	s_cbranch_execz .LBB27_68
; %bb.67:
	v_div_scale_f32 v6, s[2:3], v11, v11, v5
	v_div_scale_f32 v12, vcc, v5, v11, v5
	s_mov_b32 s2, 0xf800000
	v_rcp_f32_e32 v13, v6
	v_fma_f32 v14, -v6, v13, 1.0
	v_fmac_f32_e32 v13, v14, v13
	v_mul_f32_e32 v14, v12, v13
	v_fma_f32 v15, -v6, v14, v12
	v_fmac_f32_e32 v14, v15, v13
	v_fma_f32 v6, -v6, v14, v12
	v_div_fmas_f32 v6, v6, v13, v14
	v_mov_b32_e32 v12, 0x260
	v_div_fixup_f32 v5, v6, v11, v5
	v_fma_f32 v5, v5, v5, 1.0
	v_mul_f32_e32 v6, 0x4f800000, v5
	v_cmp_gt_f32_e32 vcc, s2, v5
	v_cndmask_b32_e32 v5, v5, v6, vcc
	v_sqrt_f32_e32 v6, v5
	v_add_u32_e32 v13, -1, v6
	v_add_u32_e32 v14, 1, v6
	v_fma_f32 v15, -v13, v6, v5
	v_fma_f32 v18, -v14, v6, v5
	v_cmp_ge_f32_e64 s[2:3], 0, v15
	v_cndmask_b32_e64 v6, v6, v13, s[2:3]
	v_cmp_lt_f32_e64 s[2:3], 0, v18
	v_cndmask_b32_e64 v6, v6, v14, s[2:3]
	v_mul_f32_e32 v13, 0x37800000, v6
	v_cndmask_b32_e32 v6, v6, v13, vcc
	v_cmp_class_f32_e32 vcc, v5, v12
	v_cndmask_b32_e32 v5, v6, v5, vcc
	v_mul_f32_e32 v6, v11, v5
.LBB27_68:
	s_or_b64 exec, exec, s[10:11]
                                        ; implicit-def: $vgpr5
                                        ; implicit-def: $vgpr11
.LBB27_69:
	s_andn2_saveexec_b64 s[8:9], s[8:9]
	s_cbranch_execz .LBB27_71
; %bb.70:
	v_div_scale_f32 v6, s[2:3], v5, v5, v11
	v_div_scale_f32 v12, vcc, v11, v5, v11
	s_mov_b32 s2, 0xf800000
	v_rcp_f32_e32 v13, v6
	v_fma_f32 v14, -v6, v13, 1.0
	v_fmac_f32_e32 v13, v14, v13
	v_mul_f32_e32 v14, v12, v13
	v_fma_f32 v15, -v6, v14, v12
	v_fmac_f32_e32 v14, v15, v13
	v_fma_f32 v6, -v6, v14, v12
	v_div_fmas_f32 v6, v6, v13, v14
	v_mov_b32_e32 v12, 0x260
	v_div_fixup_f32 v6, v6, v5, v11
	v_fma_f32 v6, v6, v6, 1.0
	v_mul_f32_e32 v11, 0x4f800000, v6
	v_cmp_gt_f32_e32 vcc, s2, v6
	v_cndmask_b32_e32 v6, v6, v11, vcc
	v_sqrt_f32_e32 v11, v6
	v_add_u32_e32 v13, -1, v11
	v_add_u32_e32 v14, 1, v11
	v_fma_f32 v15, -v13, v11, v6
	v_fma_f32 v18, -v14, v11, v6
	v_cmp_ge_f32_e64 s[2:3], 0, v15
	v_cndmask_b32_e64 v11, v11, v13, s[2:3]
	v_cmp_lt_f32_e64 s[2:3], 0, v18
	v_cndmask_b32_e64 v11, v11, v14, s[2:3]
	v_mul_f32_e32 v13, 0x37800000, v11
	v_cndmask_b32_e32 v11, v11, v13, vcc
	v_cmp_class_f32_e32 vcc, v6, v12
	v_cndmask_b32_e32 v6, v11, v6, vcc
	v_mul_f32_e32 v6, v5, v6
.LBB27_71:
	s_or_b64 exec, exec, s[8:9]
	v_cvt_f64_f32_e32 v[5:6], v6
	v_cmp_eq_u32_e64 s[2:3], 0, v16
	s_and_b64 vcc, exec, s[0:1]
	s_mov_b64 s[0:1], -1
	s_cbranch_vccnz .LBB27_75
; %bb.72:
	v_cvt_f64_f32_e32 v[11:12], v17
	s_cmp_eq_u64 s[24:25], 8
	s_cselect_b64 vcc, -1, 0
	v_cndmask_b32_e32 v3, v12, v3, vcc
	v_cndmask_b32_e32 v2, v11, v2, vcc
	v_cmp_ge_f64_e32 vcc, v[2:3], v[5:6]
	s_and_b64 s[8:9], s[2:3], vcc
	s_and_saveexec_b64 s[0:1], s[8:9]
	s_cbranch_execz .LBB27_74
; %bb.73:
	v_mov_b32_e32 v2, s33
	v_mov_b32_e32 v3, s35
	global_store_dwordx2 v[9:10], v[2:3], off
	s_waitcnt vmcnt(0)
	buffer_wbinvl1_vol
.LBB27_74:
	s_or_b64 exec, exec, s[0:1]
	s_mov_b64 s[0:1], 0
.LBB27_75:
	s_andn2_b64 vcc, exec, s[0:1]
	s_cbranch_vccnz .LBB27_86
; %bb.76:
	s_load_dwordx2 s[0:1], s[4:5], 0x48
	v_add_u32_e32 v2, s34, v4
	s_waitcnt lgkmcnt(0)
	v_cmp_ge_f64_e32 vcc, s[0:1], v[5:6]
	s_and_b64 s[4:5], s[2:3], vcc
	s_and_saveexec_b64 s[0:1], s[4:5]
	s_cbranch_execz .LBB27_81
; %bb.77:
	s_mov_b64 s[4:5], exec
	s_brev_b32 s8, -2
.LBB27_78:                              ; =>This Inner Loop Header: Depth=1
	s_ff1_i32_b64 s9, s[4:5]
	v_readlane_b32 s12, v2, s9
	s_lshl_b64 s[10:11], 1, s9
	s_min_i32 s8, s8, s12
	s_andn2_b64 s[4:5], s[4:5], s[10:11]
	s_cmp_lg_u64 s[4:5], 0
	s_cbranch_scc1 .LBB27_78
; %bb.79:
	v_mbcnt_lo_u32_b32 v3, exec_lo, 0
	v_mbcnt_hi_u32_b32 v3, exec_hi, v3
	v_cmp_eq_u32_e32 vcc, 0, v3
	s_and_saveexec_b64 s[4:5], vcc
	s_xor_b64 s[4:5], exec, s[4:5]
	s_cbranch_execz .LBB27_81
; %bb.80:
	v_mov_b32_e32 v3, 0
	v_mov_b32_e32 v4, s8
	global_atomic_smin v3, v4, s[22:23]
.LBB27_81:
	s_or_b64 exec, exec, s[0:1]
	v_cmp_eq_f32_e32 vcc, 0, v7
	v_cmp_eq_f32_e64 s[0:1], 0, v8
	s_and_b64 s[0:1], vcc, s[0:1]
	s_and_b64 s[0:1], s[2:3], s[0:1]
	s_and_b64 exec, exec, s[0:1]
	s_cbranch_execz .LBB27_86
; %bb.82:
	s_mov_b64 s[0:1], exec
	s_brev_b32 s2, -2
.LBB27_83:                              ; =>This Inner Loop Header: Depth=1
	s_ff1_i32_b64 s3, s[0:1]
	v_readlane_b32 s8, v2, s3
	s_lshl_b64 s[4:5], 1, s3
	s_min_i32 s2, s2, s8
	s_andn2_b64 s[0:1], s[0:1], s[4:5]
	s_cmp_lg_u64 s[0:1], 0
	s_cbranch_scc1 .LBB27_83
; %bb.84:
	v_mbcnt_lo_u32_b32 v2, exec_lo, 0
	v_mbcnt_hi_u32_b32 v2, exec_hi, v2
	v_cmp_eq_u32_e32 vcc, 0, v2
	s_and_saveexec_b64 s[0:1], vcc
	s_xor_b64 s[0:1], exec, s[0:1]
	s_cbranch_execz .LBB27_86
; %bb.85:
	v_mov_b32_e32 v2, 0
	v_mov_b32_e32 v3, s2
	global_atomic_smin v2, v3, s[20:21]
.LBB27_86:
	s_or_b64 exec, exec, s[6:7]
	v_cmp_eq_u32_e32 vcc, 0, v16
	s_waitcnt vmcnt(0)
	buffer_wbinvl1_vol
	s_and_b64 exec, exec, vcc
	s_cbranch_execz .LBB27_88
; %bb.87:
	v_mov_b32_e32 v2, s17
	v_add_co_u32_e32 v0, vcc, s16, v0
	v_addc_co_u32_e32 v1, vcc, v2, v1, vcc
	v_mov_b32_e32 v2, 1
	global_store_dword v[0:1], v2, off
.LBB27_88:
	s_endpgm
	.section	.rodata,"a",@progbits
	.p2align	6, 0x0
	.amdhsa_kernel _ZN9rocsparseL12csrilu0_hashILj256ELj32ELj1E21rocsparse_complex_numIfEEEviPKiS4_PT2_S4_PiS4_S7_S7_d21rocsparse_index_base_imNS_24const_host_device_scalarIfEENS9_IdEENS9_IS5_EEb
		.amdhsa_group_segment_fixed_size 2048
		.amdhsa_private_segment_fixed_size 0
		.amdhsa_kernarg_size 124
		.amdhsa_user_sgpr_count 6
		.amdhsa_user_sgpr_private_segment_buffer 1
		.amdhsa_user_sgpr_dispatch_ptr 0
		.amdhsa_user_sgpr_queue_ptr 0
		.amdhsa_user_sgpr_kernarg_segment_ptr 1
		.amdhsa_user_sgpr_dispatch_id 0
		.amdhsa_user_sgpr_flat_scratch_init 0
		.amdhsa_user_sgpr_private_segment_size 0
		.amdhsa_uses_dynamic_stack 0
		.amdhsa_system_sgpr_private_segment_wavefront_offset 0
		.amdhsa_system_sgpr_workgroup_id_x 1
		.amdhsa_system_sgpr_workgroup_id_y 0
		.amdhsa_system_sgpr_workgroup_id_z 0
		.amdhsa_system_sgpr_workgroup_info 0
		.amdhsa_system_vgpr_workitem_id 0
		.amdhsa_next_free_vgpr 31
		.amdhsa_next_free_sgpr 62
		.amdhsa_reserve_vcc 1
		.amdhsa_reserve_flat_scratch 0
		.amdhsa_float_round_mode_32 0
		.amdhsa_float_round_mode_16_64 0
		.amdhsa_float_denorm_mode_32 3
		.amdhsa_float_denorm_mode_16_64 3
		.amdhsa_dx10_clamp 1
		.amdhsa_ieee_mode 1
		.amdhsa_fp16_overflow 0
		.amdhsa_exception_fp_ieee_invalid_op 0
		.amdhsa_exception_fp_denorm_src 0
		.amdhsa_exception_fp_ieee_div_zero 0
		.amdhsa_exception_fp_ieee_overflow 0
		.amdhsa_exception_fp_ieee_underflow 0
		.amdhsa_exception_fp_ieee_inexact 0
		.amdhsa_exception_int_div_zero 0
	.end_amdhsa_kernel
	.section	.text._ZN9rocsparseL12csrilu0_hashILj256ELj32ELj1E21rocsparse_complex_numIfEEEviPKiS4_PT2_S4_PiS4_S7_S7_d21rocsparse_index_base_imNS_24const_host_device_scalarIfEENS9_IdEENS9_IS5_EEb,"axG",@progbits,_ZN9rocsparseL12csrilu0_hashILj256ELj32ELj1E21rocsparse_complex_numIfEEEviPKiS4_PT2_S4_PiS4_S7_S7_d21rocsparse_index_base_imNS_24const_host_device_scalarIfEENS9_IdEENS9_IS5_EEb,comdat
.Lfunc_end27:
	.size	_ZN9rocsparseL12csrilu0_hashILj256ELj32ELj1E21rocsparse_complex_numIfEEEviPKiS4_PT2_S4_PiS4_S7_S7_d21rocsparse_index_base_imNS_24const_host_device_scalarIfEENS9_IdEENS9_IS5_EEb, .Lfunc_end27-_ZN9rocsparseL12csrilu0_hashILj256ELj32ELj1E21rocsparse_complex_numIfEEEviPKiS4_PT2_S4_PiS4_S7_S7_d21rocsparse_index_base_imNS_24const_host_device_scalarIfEENS9_IdEENS9_IS5_EEb
                                        ; -- End function
	.set _ZN9rocsparseL12csrilu0_hashILj256ELj32ELj1E21rocsparse_complex_numIfEEEviPKiS4_PT2_S4_PiS4_S7_S7_d21rocsparse_index_base_imNS_24const_host_device_scalarIfEENS9_IdEENS9_IS5_EEb.num_vgpr, 31
	.set _ZN9rocsparseL12csrilu0_hashILj256ELj32ELj1E21rocsparse_complex_numIfEEEviPKiS4_PT2_S4_PiS4_S7_S7_d21rocsparse_index_base_imNS_24const_host_device_scalarIfEENS9_IdEENS9_IS5_EEb.num_agpr, 0
	.set _ZN9rocsparseL12csrilu0_hashILj256ELj32ELj1E21rocsparse_complex_numIfEEEviPKiS4_PT2_S4_PiS4_S7_S7_d21rocsparse_index_base_imNS_24const_host_device_scalarIfEENS9_IdEENS9_IS5_EEb.numbered_sgpr, 62
	.set _ZN9rocsparseL12csrilu0_hashILj256ELj32ELj1E21rocsparse_complex_numIfEEEviPKiS4_PT2_S4_PiS4_S7_S7_d21rocsparse_index_base_imNS_24const_host_device_scalarIfEENS9_IdEENS9_IS5_EEb.num_named_barrier, 0
	.set _ZN9rocsparseL12csrilu0_hashILj256ELj32ELj1E21rocsparse_complex_numIfEEEviPKiS4_PT2_S4_PiS4_S7_S7_d21rocsparse_index_base_imNS_24const_host_device_scalarIfEENS9_IdEENS9_IS5_EEb.private_seg_size, 0
	.set _ZN9rocsparseL12csrilu0_hashILj256ELj32ELj1E21rocsparse_complex_numIfEEEviPKiS4_PT2_S4_PiS4_S7_S7_d21rocsparse_index_base_imNS_24const_host_device_scalarIfEENS9_IdEENS9_IS5_EEb.uses_vcc, 1
	.set _ZN9rocsparseL12csrilu0_hashILj256ELj32ELj1E21rocsparse_complex_numIfEEEviPKiS4_PT2_S4_PiS4_S7_S7_d21rocsparse_index_base_imNS_24const_host_device_scalarIfEENS9_IdEENS9_IS5_EEb.uses_flat_scratch, 0
	.set _ZN9rocsparseL12csrilu0_hashILj256ELj32ELj1E21rocsparse_complex_numIfEEEviPKiS4_PT2_S4_PiS4_S7_S7_d21rocsparse_index_base_imNS_24const_host_device_scalarIfEENS9_IdEENS9_IS5_EEb.has_dyn_sized_stack, 0
	.set _ZN9rocsparseL12csrilu0_hashILj256ELj32ELj1E21rocsparse_complex_numIfEEEviPKiS4_PT2_S4_PiS4_S7_S7_d21rocsparse_index_base_imNS_24const_host_device_scalarIfEENS9_IdEENS9_IS5_EEb.has_recursion, 0
	.set _ZN9rocsparseL12csrilu0_hashILj256ELj32ELj1E21rocsparse_complex_numIfEEEviPKiS4_PT2_S4_PiS4_S7_S7_d21rocsparse_index_base_imNS_24const_host_device_scalarIfEENS9_IdEENS9_IS5_EEb.has_indirect_call, 0
	.section	.AMDGPU.csdata,"",@progbits
; Kernel info:
; codeLenInByte = 3076
; TotalNumSgprs: 66
; NumVgprs: 31
; ScratchSize: 0
; MemoryBound: 0
; FloatMode: 240
; IeeeMode: 1
; LDSByteSize: 2048 bytes/workgroup (compile time only)
; SGPRBlocks: 8
; VGPRBlocks: 7
; NumSGPRsForWavesPerEU: 66
; NumVGPRsForWavesPerEU: 31
; Occupancy: 8
; WaveLimiterHint : 1
; COMPUTE_PGM_RSRC2:SCRATCH_EN: 0
; COMPUTE_PGM_RSRC2:USER_SGPR: 6
; COMPUTE_PGM_RSRC2:TRAP_HANDLER: 0
; COMPUTE_PGM_RSRC2:TGID_X_EN: 1
; COMPUTE_PGM_RSRC2:TGID_Y_EN: 0
; COMPUTE_PGM_RSRC2:TGID_Z_EN: 0
; COMPUTE_PGM_RSRC2:TIDIG_COMP_CNT: 0
	.section	.text._ZN9rocsparseL12csrilu0_hashILj256ELj32ELj2E21rocsparse_complex_numIfEEEviPKiS4_PT2_S4_PiS4_S7_S7_d21rocsparse_index_base_imNS_24const_host_device_scalarIfEENS9_IdEENS9_IS5_EEb,"axG",@progbits,_ZN9rocsparseL12csrilu0_hashILj256ELj32ELj2E21rocsparse_complex_numIfEEEviPKiS4_PT2_S4_PiS4_S7_S7_d21rocsparse_index_base_imNS_24const_host_device_scalarIfEENS9_IdEENS9_IS5_EEb,comdat
	.globl	_ZN9rocsparseL12csrilu0_hashILj256ELj32ELj2E21rocsparse_complex_numIfEEEviPKiS4_PT2_S4_PiS4_S7_S7_d21rocsparse_index_base_imNS_24const_host_device_scalarIfEENS9_IdEENS9_IS5_EEb ; -- Begin function _ZN9rocsparseL12csrilu0_hashILj256ELj32ELj2E21rocsparse_complex_numIfEEEviPKiS4_PT2_S4_PiS4_S7_S7_d21rocsparse_index_base_imNS_24const_host_device_scalarIfEENS9_IdEENS9_IS5_EEb
	.p2align	8
	.type	_ZN9rocsparseL12csrilu0_hashILj256ELj32ELj2E21rocsparse_complex_numIfEEEviPKiS4_PT2_S4_PiS4_S7_S7_d21rocsparse_index_base_imNS_24const_host_device_scalarIfEENS9_IdEENS9_IS5_EEb,@function
_ZN9rocsparseL12csrilu0_hashILj256ELj32ELj2E21rocsparse_complex_numIfEEEviPKiS4_PT2_S4_PiS4_S7_S7_d21rocsparse_index_base_imNS_24const_host_device_scalarIfEENS9_IdEENS9_IS5_EEb: ; @_ZN9rocsparseL12csrilu0_hashILj256ELj32ELj2E21rocsparse_complex_numIfEEEviPKiS4_PT2_S4_PiS4_S7_S7_d21rocsparse_index_base_imNS_24const_host_device_scalarIfEENS9_IdEENS9_IS5_EEb
; %bb.0:
	s_load_dword s0, s[4:5], 0x78
	s_load_dwordx2 s[34:35], s[4:5], 0x50
	s_load_dwordx8 s[24:31], s[4:5], 0x58
	s_waitcnt lgkmcnt(0)
	s_bitcmp1_b32 s0, 0
	s_cselect_b64 s[2:3], -1, 0
	s_cmp_eq_u32 s35, 0
	s_cselect_b64 s[12:13], -1, 0
	s_cmp_lg_u32 s35, 0
	s_cselect_b64 s[8:9], -1, 0
	s_or_b64 s[14:15], s[12:13], s[2:3]
	s_xor_b64 s[0:1], s[14:15], -1
	s_and_b64 s[10:11], s[12:13], exec
	s_cselect_b32 s11, 0, s29
	s_cselect_b32 s10, 0, s28
	s_and_b64 vcc, exec, s[14:15]
	s_cbranch_vccnz .LBB28_2
; %bb.1:
	s_load_dword s7, s[26:27], 0x0
	s_mov_b64 s[10:11], s[28:29]
	s_waitcnt lgkmcnt(0)
	v_mov_b32_e32 v18, s7
	v_mov_b32_e32 v3, s10
	s_andn2_b64 vcc, exec, s[0:1]
	v_mov_b32_e32 v4, s11
	s_cbranch_vccz .LBB28_3
	s_branch .LBB28_4
.LBB28_2:
	v_mov_b32_e32 v1, s26
	v_cndmask_b32_e64 v18, v1, 0, s[12:13]
	v_mov_b32_e32 v3, s10
	s_andn2_b64 vcc, exec, s[0:1]
	v_mov_b32_e32 v4, s11
	s_cbranch_vccnz .LBB28_4
.LBB28_3:
	v_mov_b32_e32 v1, s28
	v_mov_b32_e32 v2, s29
	flat_load_dwordx2 v[3:4], v[1:2]
.LBB28_4:
	v_cndmask_b32_e64 v1, 0, 1, s[8:9]
	s_mov_b32 s33, 0
	v_cmp_ne_u32_e64 s[0:1], 1, v1
	s_andn2_b64 vcc, exec, s[8:9]
	s_mov_b32 s35, 0
	s_cbranch_vccnz .LBB28_10
; %bb.5:
	s_xor_b64 s[8:9], s[2:3], -1
	v_cndmask_b32_e64 v1, 0, 1, s[8:9]
	v_cmp_ne_u32_e64 s[2:3], 1, v1
	s_andn2_b64 vcc, exec, s[8:9]
	s_mov_b32 s33, s30
	s_cbranch_vccnz .LBB28_7
; %bb.6:
	s_load_dword s33, s[30:31], 0x0
.LBB28_7:
	s_and_b64 vcc, exec, s[2:3]
	s_cbranch_vccnz .LBB28_9
; %bb.8:
	s_load_dword s31, s[30:31], 0x4
.LBB28_9:
	s_waitcnt lgkmcnt(0)
	s_mov_b32 s35, s31
.LBB28_10:
	v_and_b32_e32 v17, 31, v0
	v_lshrrev_b32_e32 v1, 5, v0
	v_lshlrev_b32_e32 v5, 8, v1
	v_lshlrev_b32_e32 v6, 2, v17
	s_movk_i32 s2, 0x800
	v_or_b32_e32 v2, 0xffffffe0, v17
	v_or3_b32 v5, v5, v6, s2
	s_mov_b64 s[2:3], 0
	v_mov_b32_e32 v6, -1
.LBB28_11:                              ; =>This Inner Loop Header: Depth=1
	v_add_co_u32_e32 v2, vcc, 32, v2
	s_xor_b64 s[8:9], vcc, -1
	s_and_b64 s[8:9], exec, s[8:9]
	ds_write_b32 v5, v6
	s_or_b64 s[2:3], s[8:9], s[2:3]
	v_add_u32_e32 v5, 0x80, v5
	s_andn2_b64 exec, exec, s[2:3]
	s_cbranch_execnz .LBB28_11
; %bb.12:
	s_or_b64 exec, exec, s[2:3]
	s_load_dword s2, s[4:5], 0x0
	s_lshl_b32 s3, s6, 3
	s_and_b32 s3, s3, 0x7fffff8
	v_or_b32_e32 v1, s3, v1
	s_waitcnt lgkmcnt(0)
	v_cmp_gt_i32_e32 vcc, s2, v1
	s_and_saveexec_b64 s[2:3], vcc
	s_cbranch_execz .LBB28_90
; %bb.13:
	s_load_dwordx16 s[8:23], s[4:5], 0x8
	v_lshlrev_b32_e32 v1, 2, v1
	v_lshlrev_b32_e32 v0, 3, v0
	v_and_b32_e32 v0, 0x700, v0
	v_or_b32_e32 v19, 0x800, v0
	s_waitcnt lgkmcnt(0)
	global_load_dword v5, v1, s[18:19]
	v_mov_b32_e32 v7, s9
	v_mov_b32_e32 v10, s15
	s_waitcnt vmcnt(0)
	v_ashrrev_i32_e32 v6, 31, v5
	v_lshlrev_b64 v[1:2], 2, v[5:6]
	v_add_co_u32_e32 v6, vcc, s8, v1
	v_addc_co_u32_e32 v7, vcc, v7, v2, vcc
	global_load_dwordx2 v[7:8], v[6:7], off
	v_add_co_u32_e32 v9, vcc, s14, v1
	v_addc_co_u32_e32 v10, vcc, v10, v2, vcc
	global_load_dword v6, v[9:10], off
	s_waitcnt vmcnt(1)
	v_subrev_u32_e32 v7, s34, v7
	v_subrev_u32_e32 v10, s34, v8
	v_add_u32_e32 v8, v7, v17
	v_cmp_lt_i32_e32 vcc, v8, v10
	s_and_saveexec_b64 s[2:3], vcc
	s_cbranch_execz .LBB28_36
; %bb.14:
	s_mov_b64 s[6:7], 0
	v_mov_b32_e32 v11, s11
	v_mov_b32_e32 v12, -1
	s_branch .LBB28_16
.LBB28_15:                              ;   in Loop: Header=BB28_16 Depth=1
	s_or_b64 exec, exec, s[18:19]
	v_add_u32_e32 v8, 32, v8
	v_cmp_ge_i32_e32 vcc, v8, v10
	s_or_b64 s[6:7], vcc, s[6:7]
	s_andn2_b64 exec, exec, s[6:7]
	s_cbranch_execz .LBB28_36
.LBB28_16:                              ; =>This Loop Header: Depth=1
                                        ;     Child Loop BB28_25 Depth 2
	v_ashrrev_i32_e32 v9, 31, v8
	v_lshlrev_b64 v[13:14], 2, v[8:9]
	s_mov_b64 s[26:27], 0
	v_add_co_u32_e32 v13, vcc, s10, v13
	v_addc_co_u32_e32 v14, vcc, v11, v14, vcc
	global_load_dword v9, v[13:14], off
	v_mov_b32_e32 v13, 64
                                        ; implicit-def: $sgpr18_sgpr19
                                        ; implicit-def: $sgpr28_sgpr29
                                        ; implicit-def: $sgpr30_sgpr31
	s_waitcnt vmcnt(0)
	v_mul_lo_u32 v15, v9, 39
	s_branch .LBB28_25
.LBB28_17:                              ;   in Loop: Header=BB28_25 Depth=2
	s_or_b64 exec, exec, s[54:55]
	s_orn2_b64 s[50:51], s[50:51], exec
	s_orn2_b64 s[52:53], s[52:53], exec
.LBB28_18:                              ;   in Loop: Header=BB28_25 Depth=2
	s_or_b64 exec, exec, s[48:49]
	s_and_b64 s[50:51], s[50:51], exec
	s_orn2_b64 s[48:49], s[52:53], exec
.LBB28_19:                              ;   in Loop: Header=BB28_25 Depth=2
	s_or_b64 exec, exec, s[46:47]
	s_orn2_b64 s[50:51], s[50:51], exec
	s_orn2_b64 s[46:47], s[48:49], exec
.LBB28_20:                              ;   in Loop: Header=BB28_25 Depth=2
	s_or_b64 exec, exec, s[44:45]
	s_and_b64 s[48:49], s[50:51], exec
	s_orn2_b64 s[44:45], s[46:47], exec
.LBB28_21:                              ;   in Loop: Header=BB28_25 Depth=2
	s_or_b64 exec, exec, s[42:43]
	s_orn2_b64 s[42:43], s[48:49], exec
	s_orn2_b64 s[44:45], s[44:45], exec
.LBB28_22:                              ;   in Loop: Header=BB28_25 Depth=2
	s_or_b64 exec, exec, s[40:41]
	s_and_b64 s[42:43], s[42:43], exec
	s_orn2_b64 s[40:41], s[44:45], exec
.LBB28_23:                              ;   in Loop: Header=BB28_25 Depth=2
	s_or_b64 exec, exec, s[38:39]
	s_andn2_b64 s[30:31], s[30:31], exec
	s_and_b64 s[38:39], s[42:43], exec
	s_or_b64 s[30:31], s[30:31], s[38:39]
	s_andn2_b64 s[28:29], s[28:29], exec
	s_and_b64 s[38:39], s[40:41], exec
	s_or_b64 s[28:29], s[28:29], s[38:39]
.LBB28_24:                              ;   in Loop: Header=BB28_25 Depth=2
	s_or_b64 exec, exec, s[36:37]
	s_and_b64 s[36:37], exec, s[28:29]
	s_or_b64 s[26:27], s[36:37], s[26:27]
	s_andn2_b64 s[18:19], s[18:19], exec
	s_and_b64 s[36:37], s[30:31], exec
	s_or_b64 s[18:19], s[18:19], s[36:37]
	s_andn2_b64 exec, exec, s[26:27]
	s_cbranch_execz .LBB28_34
.LBB28_25:                              ;   Parent Loop BB28_16 Depth=1
                                        ; =>  This Inner Loop Header: Depth=2
	v_and_b32_e32 v14, 63, v15
	v_lshl_add_u32 v16, v14, 2, v19
	ds_read_b32 v20, v16
	s_or_b64 s[30:31], s[30:31], exec
	s_or_b64 s[28:29], s[28:29], exec
	s_waitcnt lgkmcnt(0)
	v_cmp_ne_u32_e32 vcc, v20, v9
	s_and_saveexec_b64 s[36:37], vcc
	s_cbranch_execz .LBB28_24
; %bb.26:                               ;   in Loop: Header=BB28_25 Depth=2
	ds_cmpst_rtn_b32 v16, v16, v12, v9
	s_mov_b64 s[40:41], -1
	s_mov_b64 s[42:43], 0
	s_waitcnt lgkmcnt(0)
	v_cmp_ne_u32_e32 vcc, -1, v16
	s_and_saveexec_b64 s[38:39], vcc
	s_cbranch_execz .LBB28_23
; %bb.27:                               ;   in Loop: Header=BB28_25 Depth=2
	v_add_u32_e32 v14, 1, v15
	v_and_b32_e32 v14, 63, v14
	v_lshl_add_u32 v16, v14, 2, v19
	ds_read_b32 v20, v16
	s_mov_b64 s[44:45], -1
	s_mov_b64 s[42:43], -1
	s_waitcnt lgkmcnt(0)
	v_cmp_ne_u32_e32 vcc, v20, v9
	s_and_saveexec_b64 s[40:41], vcc
	s_cbranch_execz .LBB28_22
; %bb.28:                               ;   in Loop: Header=BB28_25 Depth=2
	ds_cmpst_rtn_b32 v16, v16, v12, v9
	s_mov_b64 s[48:49], 0
	s_waitcnt lgkmcnt(0)
	v_cmp_ne_u32_e32 vcc, -1, v16
	s_and_saveexec_b64 s[42:43], vcc
	s_cbranch_execz .LBB28_21
; %bb.29:                               ;   in Loop: Header=BB28_25 Depth=2
	v_add_u32_e32 v14, 2, v15
	v_and_b32_e32 v14, 63, v14
	v_lshl_add_u32 v16, v14, 2, v19
	ds_read_b32 v20, v16
	s_mov_b64 s[46:47], -1
	s_mov_b64 s[50:51], -1
	s_waitcnt lgkmcnt(0)
	v_cmp_ne_u32_e32 vcc, v20, v9
	s_and_saveexec_b64 s[44:45], vcc
	s_cbranch_execz .LBB28_20
; %bb.30:                               ;   in Loop: Header=BB28_25 Depth=2
	ds_cmpst_rtn_b32 v16, v16, v12, v9
	s_mov_b64 s[48:49], -1
	s_mov_b64 s[50:51], 0
	s_waitcnt lgkmcnt(0)
	v_cmp_ne_u32_e32 vcc, -1, v16
	s_and_saveexec_b64 s[46:47], vcc
	s_cbranch_execz .LBB28_19
; %bb.31:                               ;   in Loop: Header=BB28_25 Depth=2
	v_add_u32_e32 v14, 3, v15
	v_and_b32_e32 v14, 63, v14
	v_lshl_add_u32 v16, v14, 2, v19
	ds_read_b32 v15, v16
	s_mov_b64 s[52:53], -1
	s_mov_b64 s[50:51], -1
	s_waitcnt lgkmcnt(0)
	v_cmp_ne_u32_e32 vcc, v15, v9
                                        ; implicit-def: $vgpr15
	s_and_saveexec_b64 s[48:49], vcc
	s_cbranch_execz .LBB28_18
; %bb.32:                               ;   in Loop: Header=BB28_25 Depth=2
	ds_cmpst_rtn_b32 v15, v16, v12, v9
	s_mov_b64 s[50:51], 0
	s_waitcnt lgkmcnt(0)
	v_cmp_ne_u32_e32 vcc, -1, v15
                                        ; implicit-def: $vgpr15
	s_and_saveexec_b64 s[54:55], vcc
	s_cbranch_execz .LBB28_17
; %bb.33:                               ;   in Loop: Header=BB28_25 Depth=2
	v_add_u32_e32 v13, -4, v13
	v_cmp_eq_u32_e32 vcc, 0, v13
	s_mov_b64 s[50:51], exec
	v_add_u32_e32 v15, 1, v14
	s_orn2_b64 s[52:53], vcc, exec
	s_branch .LBB28_17
.LBB28_34:                              ;   in Loop: Header=BB28_16 Depth=1
	s_or_b64 exec, exec, s[26:27]
	s_xor_b64 s[18:19], s[18:19], -1
	s_and_saveexec_b64 s[26:27], s[18:19]
	s_xor_b64 s[18:19], exec, s[26:27]
	s_cbranch_execz .LBB28_15
; %bb.35:                               ;   in Loop: Header=BB28_16 Depth=1
	v_lshl_add_u32 v9, v14, 2, v0
	ds_write_b32 v9, v8
	s_branch .LBB28_15
.LBB28_36:
	s_or_b64 exec, exec, s[2:3]
	s_waitcnt vmcnt(0)
	v_cmp_lt_i32_e32 vcc, v7, v6
	s_waitcnt lgkmcnt(0)
	s_and_saveexec_b64 s[6:7], vcc
	s_cbranch_execz .LBB28_66
; %bb.37:
	v_add_u32_e32 v20, 1, v17
	s_mov_b64 s[18:19], 0
	v_mov_b32_e32 v21, s11
	v_mov_b32_e32 v22, s13
	v_mov_b32_e32 v23, s9
	v_mov_b32_e32 v24, s15
	v_mov_b32_e32 v25, s17
	s_branch .LBB28_40
.LBB28_38:                              ;   in Loop: Header=BB28_40 Depth=1
	s_or_b64 exec, exec, s[26:27]
	v_add_u32_e32 v7, 1, v7
	v_cmp_ge_i32_e32 vcc, v7, v6
	s_orn2_b64 s[26:27], vcc, exec
.LBB28_39:                              ;   in Loop: Header=BB28_40 Depth=1
	s_or_b64 exec, exec, s[2:3]
	s_and_b64 s[2:3], exec, s[26:27]
	s_or_b64 s[18:19], s[2:3], s[18:19]
	s_andn2_b64 exec, exec, s[18:19]
	s_cbranch_execz .LBB28_66
.LBB28_40:                              ; =>This Loop Header: Depth=1
                                        ;     Child Loop BB28_41 Depth 2
                                        ;     Child Loop BB28_46 Depth 2
                                        ;       Child Loop BB28_55 Depth 3
	v_ashrrev_i32_e32 v8, 31, v7
	v_lshlrev_b64 v[9:10], 2, v[7:8]
	s_mov_b64 s[2:3], 0
	v_add_co_u32_e32 v9, vcc, s10, v9
	v_addc_co_u32_e32 v10, vcc, v21, v10, vcc
	global_load_dword v11, v[9:10], off
	v_lshlrev_b64 v[8:9], 3, v[7:8]
	v_add_co_u32_e32 v12, vcc, s12, v8
	v_addc_co_u32_e32 v13, vcc, v22, v9, vcc
	global_load_dwordx2 v[9:10], v[12:13], off
	s_waitcnt vmcnt(1)
	v_subrev_u32_e32 v14, s34, v11
	v_ashrrev_i32_e32 v15, 31, v14
	v_lshlrev_b64 v[14:15], 2, v[14:15]
	v_add_co_u32_e32 v26, vcc, s8, v14
	v_addc_co_u32_e32 v27, vcc, v23, v15, vcc
	v_add_co_u32_e32 v28, vcc, s14, v14
	v_addc_co_u32_e32 v29, vcc, v24, v15, vcc
	global_load_dword v8, v[26:27], off offset:4
	global_load_dword v11, v[28:29], off
	v_add_co_u32_e32 v14, vcc, s16, v14
	v_addc_co_u32_e32 v15, vcc, v25, v15, vcc
.LBB28_41:                              ;   Parent Loop BB28_40 Depth=1
                                        ; =>  This Inner Loop Header: Depth=2
	global_load_dword v16, v[14:15], off glc
	s_waitcnt vmcnt(0)
	v_cmp_ne_u32_e32 vcc, 0, v16
	s_or_b64 s[2:3], vcc, s[2:3]
	s_andn2_b64 exec, exec, s[2:3]
	s_cbranch_execnz .LBB28_41
; %bb.42:                               ;   in Loop: Header=BB28_40 Depth=1
	s_or_b64 exec, exec, s[2:3]
	v_subrev_u32_e32 v26, s34, v8
	v_add_u32_e32 v8, -1, v26
	v_cmp_eq_u32_e32 vcc, -1, v11
	v_cndmask_b32_e32 v14, v11, v8, vcc
	v_ashrrev_i32_e32 v15, 31, v14
	v_lshlrev_b64 v[15:16], 3, v[14:15]
	buffer_wbinvl1_vol
	v_add_co_u32_e32 v15, vcc, s12, v15
	v_addc_co_u32_e32 v16, vcc, v22, v16, vcc
	global_load_dwordx2 v[15:16], v[15:16], off
	s_mov_b64 s[26:27], -1
	s_waitcnt vmcnt(0)
	v_cmp_neq_f32_e32 vcc, 0, v15
	v_cmp_neq_f32_e64 s[2:3], 0, v16
	s_or_b64 s[28:29], vcc, s[2:3]
	s_and_saveexec_b64 s[2:3], s[28:29]
	s_cbranch_execz .LBB28_39
; %bb.43:                               ;   in Loop: Header=BB28_40 Depth=1
	v_mul_f32_e32 v11, v16, v16
	v_fmac_f32_e32 v11, v15, v15
	v_div_scale_f32 v8, s[26:27], v11, v11, 1.0
	v_div_scale_f32 v27, vcc, 1.0, v11, 1.0
	v_rcp_f32_e32 v28, v8
	v_fma_f32 v29, -v8, v28, 1.0
	v_fmac_f32_e32 v28, v29, v28
	v_mul_f32_e32 v29, v27, v28
	v_fma_f32 v30, -v8, v29, v27
	v_fmac_f32_e32 v29, v30, v28
	v_fma_f32 v8, -v8, v29, v27
	v_div_fmas_f32 v27, v8, v28, v29
	v_mul_f32_e32 v28, v10, v16
	v_mul_f32_e64 v16, v16, -v9
	v_add_u32_e32 v8, v20, v14
	v_fmac_f32_e32 v28, v9, v15
	v_fmac_f32_e32 v16, v10, v15
	v_cmp_lt_i32_e32 vcc, v8, v26
	v_div_fixup_f32 v9, v27, v11, 1.0
	v_mul_f32_e32 v10, v28, v9
	v_mul_f32_e32 v11, v16, v9
	global_store_dwordx2 v[12:13], v[10:11], off
	s_and_saveexec_b64 s[26:27], vcc
	s_cbranch_execz .LBB28_38
; %bb.44:                               ;   in Loop: Header=BB28_40 Depth=1
	s_mov_b64 s[28:29], 0
	s_branch .LBB28_46
.LBB28_45:                              ;   in Loop: Header=BB28_46 Depth=2
	s_or_b64 exec, exec, s[30:31]
	v_add_u32_e32 v8, 32, v8
	v_cmp_ge_i32_e32 vcc, v8, v26
	s_or_b64 s[28:29], vcc, s[28:29]
	s_andn2_b64 exec, exec, s[28:29]
	s_cbranch_execz .LBB28_38
.LBB28_46:                              ;   Parent Loop BB28_40 Depth=1
                                        ; =>  This Loop Header: Depth=2
                                        ;       Child Loop BB28_55 Depth 3
	v_ashrrev_i32_e32 v9, 31, v8
	v_lshlrev_b64 v[12:13], 2, v[8:9]
	s_mov_b64 s[36:37], 0
	v_add_co_u32_e32 v12, vcc, s10, v12
	v_addc_co_u32_e32 v13, vcc, v21, v13, vcc
	global_load_dword v12, v[12:13], off
	v_mov_b32_e32 v13, 64
                                        ; implicit-def: $sgpr30_sgpr31
                                        ; implicit-def: $sgpr38_sgpr39
                                        ; implicit-def: $sgpr40_sgpr41
	s_waitcnt vmcnt(0)
	v_mul_lo_u32 v15, v12, 39
	s_branch .LBB28_55
.LBB28_47:                              ;   in Loop: Header=BB28_55 Depth=3
	s_or_b64 exec, exec, s[60:61]
	s_orn2_b64 s[56:57], s[56:57], exec
	s_orn2_b64 s[58:59], s[58:59], exec
.LBB28_48:                              ;   in Loop: Header=BB28_55 Depth=3
	s_or_b64 exec, exec, s[54:55]
	s_and_b64 s[56:57], s[56:57], exec
	s_orn2_b64 s[54:55], s[58:59], exec
.LBB28_49:                              ;   in Loop: Header=BB28_55 Depth=3
	s_or_b64 exec, exec, s[52:53]
	s_orn2_b64 s[56:57], s[56:57], exec
	s_orn2_b64 s[52:53], s[54:55], exec
.LBB28_50:                              ;   in Loop: Header=BB28_55 Depth=3
	s_or_b64 exec, exec, s[50:51]
	s_and_b64 s[54:55], s[56:57], exec
	s_orn2_b64 s[50:51], s[52:53], exec
.LBB28_51:                              ;   in Loop: Header=BB28_55 Depth=3
	s_or_b64 exec, exec, s[48:49]
	s_orn2_b64 s[48:49], s[54:55], exec
	s_orn2_b64 s[50:51], s[50:51], exec
.LBB28_52:                              ;   in Loop: Header=BB28_55 Depth=3
	s_or_b64 exec, exec, s[46:47]
	s_and_b64 s[48:49], s[48:49], exec
	s_orn2_b64 s[46:47], s[50:51], exec
.LBB28_53:                              ;   in Loop: Header=BB28_55 Depth=3
	s_or_b64 exec, exec, s[44:45]
	s_andn2_b64 s[40:41], s[40:41], exec
	s_and_b64 s[44:45], s[48:49], exec
	s_or_b64 s[40:41], s[40:41], s[44:45]
	s_andn2_b64 s[38:39], s[38:39], exec
	s_and_b64 s[44:45], s[46:47], exec
	s_or_b64 s[38:39], s[38:39], s[44:45]
.LBB28_54:                              ;   in Loop: Header=BB28_55 Depth=3
	s_or_b64 exec, exec, s[42:43]
	s_and_b64 s[42:43], exec, s[38:39]
	s_or_b64 s[36:37], s[42:43], s[36:37]
	s_andn2_b64 s[30:31], s[30:31], exec
	s_and_b64 s[42:43], s[40:41], exec
	s_or_b64 s[30:31], s[30:31], s[42:43]
	s_andn2_b64 exec, exec, s[36:37]
	s_cbranch_execz .LBB28_64
.LBB28_55:                              ;   Parent Loop BB28_40 Depth=1
                                        ;     Parent Loop BB28_46 Depth=2
                                        ; =>    This Inner Loop Header: Depth=3
	v_and_b32_e32 v14, 63, v15
	v_lshl_add_u32 v16, v14, 2, v19
	ds_read_b32 v16, v16
	s_or_b64 s[40:41], s[40:41], exec
	s_or_b64 s[38:39], s[38:39], exec
	s_waitcnt lgkmcnt(0)
	v_cmp_ne_u32_e32 vcc, -1, v16
	s_and_saveexec_b64 s[42:43], vcc
	s_cbranch_execz .LBB28_54
; %bb.56:                               ;   in Loop: Header=BB28_55 Depth=3
	v_cmp_ne_u32_e32 vcc, v16, v12
	s_mov_b64 s[46:47], -1
	s_mov_b64 s[48:49], 0
	s_and_saveexec_b64 s[44:45], vcc
	s_cbranch_execz .LBB28_53
; %bb.57:                               ;   in Loop: Header=BB28_55 Depth=3
	v_add_u32_e32 v14, 1, v15
	v_and_b32_e32 v14, 63, v14
	v_lshl_add_u32 v16, v14, 2, v19
	ds_read_b32 v16, v16
	s_mov_b64 s[50:51], -1
	s_mov_b64 s[48:49], -1
	s_waitcnt lgkmcnt(0)
	v_cmp_ne_u32_e32 vcc, -1, v16
	s_and_saveexec_b64 s[46:47], vcc
	s_cbranch_execz .LBB28_52
; %bb.58:                               ;   in Loop: Header=BB28_55 Depth=3
	v_cmp_ne_u32_e32 vcc, v16, v12
	s_mov_b64 s[54:55], 0
	s_and_saveexec_b64 s[48:49], vcc
	s_cbranch_execz .LBB28_51
; %bb.59:                               ;   in Loop: Header=BB28_55 Depth=3
	v_add_u32_e32 v14, 2, v15
	v_and_b32_e32 v14, 63, v14
	v_lshl_add_u32 v16, v14, 2, v19
	ds_read_b32 v16, v16
	s_mov_b64 s[52:53], -1
	s_mov_b64 s[56:57], -1
	s_waitcnt lgkmcnt(0)
	v_cmp_ne_u32_e32 vcc, -1, v16
	s_and_saveexec_b64 s[50:51], vcc
	s_cbranch_execz .LBB28_50
; %bb.60:                               ;   in Loop: Header=BB28_55 Depth=3
	v_cmp_ne_u32_e32 vcc, v16, v12
	s_mov_b64 s[54:55], -1
	s_mov_b64 s[56:57], 0
	s_and_saveexec_b64 s[52:53], vcc
	s_cbranch_execz .LBB28_49
; %bb.61:                               ;   in Loop: Header=BB28_55 Depth=3
	v_add_u32_e32 v14, 3, v15
	v_and_b32_e32 v14, 63, v14
	v_lshl_add_u32 v15, v14, 2, v19
	ds_read_b32 v16, v15
	s_mov_b64 s[58:59], -1
	s_mov_b64 s[56:57], -1
                                        ; implicit-def: $vgpr15
	s_waitcnt lgkmcnt(0)
	v_cmp_ne_u32_e32 vcc, -1, v16
	s_and_saveexec_b64 s[54:55], vcc
	s_cbranch_execz .LBB28_48
; %bb.62:                               ;   in Loop: Header=BB28_55 Depth=3
	v_cmp_ne_u32_e32 vcc, v16, v12
	s_mov_b64 s[56:57], 0
                                        ; implicit-def: $vgpr15
	s_and_saveexec_b64 s[60:61], vcc
	s_cbranch_execz .LBB28_47
; %bb.63:                               ;   in Loop: Header=BB28_55 Depth=3
	v_add_u32_e32 v13, -4, v13
	v_cmp_eq_u32_e32 vcc, 0, v13
	s_mov_b64 s[56:57], exec
	v_add_u32_e32 v15, 1, v14
	s_orn2_b64 s[58:59], vcc, exec
	s_branch .LBB28_47
.LBB28_64:                              ;   in Loop: Header=BB28_46 Depth=2
	s_or_b64 exec, exec, s[36:37]
	s_xor_b64 s[30:31], s[30:31], -1
	s_and_saveexec_b64 s[36:37], s[30:31]
	s_xor_b64 s[30:31], exec, s[36:37]
	s_cbranch_execz .LBB28_45
; %bb.65:                               ;   in Loop: Header=BB28_46 Depth=2
	v_lshl_add_u32 v12, v14, 2, v0
	ds_read_b32 v12, v12
	v_lshlrev_b64 v[14:15], 3, v[8:9]
	v_mov_b32_e32 v9, s13
	v_add_co_u32_e32 v14, vcc, s12, v14
	s_waitcnt lgkmcnt(0)
	v_ashrrev_i32_e32 v13, 31, v12
	v_lshlrev_b64 v[12:13], 3, v[12:13]
	v_addc_co_u32_e32 v15, vcc, v9, v15, vcc
	v_add_co_u32_e32 v12, vcc, s12, v12
	v_addc_co_u32_e32 v13, vcc, v9, v13, vcc
	global_load_dwordx2 v[27:28], v[14:15], off
	global_load_dwordx2 v[29:30], v[12:13], off
	s_waitcnt vmcnt(0)
	v_fma_f32 v14, -v10, v27, v29
	v_fma_f32 v9, -v11, v27, v30
	v_fmac_f32_e32 v14, v11, v28
	v_fma_f32 v15, -v10, v28, v9
	global_store_dwordx2 v[12:13], v[14:15], off
	s_branch .LBB28_45
.LBB28_66:
	s_or_b64 exec, exec, s[6:7]
	v_cmp_lt_i32_e32 vcc, -1, v6
	s_and_saveexec_b64 s[6:7], vcc
	s_cbranch_execz .LBB28_88
; %bb.67:
	v_mov_b32_e32 v7, 0
	v_lshlrev_b64 v[8:9], 3, v[6:7]
	v_mov_b32_e32 v0, s13
	v_add_co_u32_e32 v10, vcc, s12, v8
	v_addc_co_u32_e32 v11, vcc, v0, v9, vcc
	global_load_dwordx2 v[8:9], v[10:11], off
	s_waitcnt vmcnt(0)
	v_cmp_gt_f32_e32 vcc, 0, v8
	v_cndmask_b32_e64 v0, v8, -v8, vcc
	v_cmp_gt_f32_e32 vcc, 0, v9
	v_cndmask_b32_e64 v6, v9, -v9, vcc
	v_cmp_ngt_f32_e32 vcc, v0, v6
	s_and_saveexec_b64 s[2:3], vcc
	s_xor_b64 s[8:9], exec, s[2:3]
	s_cbranch_execz .LBB28_71
; %bb.68:
	v_cmp_neq_f32_e32 vcc, 0, v9
	s_and_saveexec_b64 s[10:11], vcc
	s_cbranch_execz .LBB28_70
; %bb.69:
	v_div_scale_f32 v7, s[2:3], v6, v6, v0
	v_div_scale_f32 v12, vcc, v0, v6, v0
	s_mov_b32 s2, 0xf800000
	v_rcp_f32_e32 v13, v7
	v_fma_f32 v14, -v7, v13, 1.0
	v_fmac_f32_e32 v13, v14, v13
	v_mul_f32_e32 v14, v12, v13
	v_fma_f32 v15, -v7, v14, v12
	v_fmac_f32_e32 v14, v15, v13
	v_fma_f32 v7, -v7, v14, v12
	v_div_fmas_f32 v7, v7, v13, v14
	v_mov_b32_e32 v12, 0x260
	v_div_fixup_f32 v0, v7, v6, v0
	v_fma_f32 v0, v0, v0, 1.0
	v_mul_f32_e32 v7, 0x4f800000, v0
	v_cmp_gt_f32_e32 vcc, s2, v0
	v_cndmask_b32_e32 v0, v0, v7, vcc
	v_sqrt_f32_e32 v7, v0
	v_add_u32_e32 v13, -1, v7
	v_add_u32_e32 v14, 1, v7
	v_fma_f32 v15, -v13, v7, v0
	v_fma_f32 v16, -v14, v7, v0
	v_cmp_ge_f32_e64 s[2:3], 0, v15
	v_cndmask_b32_e64 v7, v7, v13, s[2:3]
	v_cmp_lt_f32_e64 s[2:3], 0, v16
	v_cndmask_b32_e64 v7, v7, v14, s[2:3]
	v_mul_f32_e32 v13, 0x37800000, v7
	v_cndmask_b32_e32 v7, v7, v13, vcc
	v_cmp_class_f32_e32 vcc, v0, v12
	v_cndmask_b32_e32 v0, v7, v0, vcc
	v_mul_f32_e32 v7, v6, v0
.LBB28_70:
	s_or_b64 exec, exec, s[10:11]
                                        ; implicit-def: $vgpr0
                                        ; implicit-def: $vgpr6
.LBB28_71:
	s_andn2_saveexec_b64 s[8:9], s[8:9]
	s_cbranch_execz .LBB28_73
; %bb.72:
	v_div_scale_f32 v7, s[2:3], v0, v0, v6
	v_div_scale_f32 v12, vcc, v6, v0, v6
	s_mov_b32 s2, 0xf800000
	v_rcp_f32_e32 v13, v7
	v_fma_f32 v14, -v7, v13, 1.0
	v_fmac_f32_e32 v13, v14, v13
	v_mul_f32_e32 v14, v12, v13
	v_fma_f32 v15, -v7, v14, v12
	v_fmac_f32_e32 v14, v15, v13
	v_fma_f32 v7, -v7, v14, v12
	v_div_fmas_f32 v7, v7, v13, v14
	v_mov_b32_e32 v12, 0x260
	v_div_fixup_f32 v6, v7, v0, v6
	v_fma_f32 v6, v6, v6, 1.0
	v_mul_f32_e32 v7, 0x4f800000, v6
	v_cmp_gt_f32_e32 vcc, s2, v6
	v_cndmask_b32_e32 v6, v6, v7, vcc
	v_sqrt_f32_e32 v7, v6
	v_add_u32_e32 v13, -1, v7
	v_add_u32_e32 v14, 1, v7
	v_fma_f32 v15, -v13, v7, v6
	v_fma_f32 v16, -v14, v7, v6
	v_cmp_ge_f32_e64 s[2:3], 0, v15
	v_cndmask_b32_e64 v7, v7, v13, s[2:3]
	v_cmp_lt_f32_e64 s[2:3], 0, v16
	v_cndmask_b32_e64 v7, v7, v14, s[2:3]
	v_mul_f32_e32 v13, 0x37800000, v7
	v_cndmask_b32_e32 v7, v7, v13, vcc
	v_cmp_class_f32_e32 vcc, v6, v12
	v_cndmask_b32_e32 v6, v7, v6, vcc
	v_mul_f32_e32 v7, v0, v6
.LBB28_73:
	s_or_b64 exec, exec, s[8:9]
	v_cvt_f64_f32_e32 v[6:7], v7
	v_cmp_eq_u32_e64 s[2:3], 0, v17
	s_and_b64 vcc, exec, s[0:1]
	s_mov_b64 s[0:1], -1
	s_cbranch_vccnz .LBB28_77
; %bb.74:
	v_cvt_f64_f32_e32 v[12:13], v18
	s_cmp_eq_u64 s[24:25], 8
	s_cselect_b64 vcc, -1, 0
	v_cndmask_b32_e32 v4, v13, v4, vcc
	v_cndmask_b32_e32 v3, v12, v3, vcc
	v_cmp_ge_f64_e32 vcc, v[3:4], v[6:7]
	s_and_b64 s[8:9], s[2:3], vcc
	s_and_saveexec_b64 s[0:1], s[8:9]
	s_cbranch_execz .LBB28_76
; %bb.75:
	v_mov_b32_e32 v3, s33
	v_mov_b32_e32 v4, s35
	global_store_dwordx2 v[10:11], v[3:4], off
	s_waitcnt vmcnt(0)
	buffer_wbinvl1_vol
.LBB28_76:
	s_or_b64 exec, exec, s[0:1]
	s_mov_b64 s[0:1], 0
.LBB28_77:
	s_andn2_b64 vcc, exec, s[0:1]
	s_cbranch_vccnz .LBB28_88
; %bb.78:
	s_load_dwordx2 s[0:1], s[4:5], 0x48
	v_add_u32_e32 v0, s34, v5
	s_waitcnt lgkmcnt(0)
	v_cmp_ge_f64_e32 vcc, s[0:1], v[6:7]
	s_and_b64 s[4:5], s[2:3], vcc
	s_and_saveexec_b64 s[0:1], s[4:5]
	s_cbranch_execz .LBB28_83
; %bb.79:
	s_mov_b64 s[4:5], exec
	s_brev_b32 s8, -2
.LBB28_80:                              ; =>This Inner Loop Header: Depth=1
	s_ff1_i32_b64 s9, s[4:5]
	v_readlane_b32 s12, v0, s9
	s_lshl_b64 s[10:11], 1, s9
	s_min_i32 s8, s8, s12
	s_andn2_b64 s[4:5], s[4:5], s[10:11]
	s_cmp_lg_u64 s[4:5], 0
	s_cbranch_scc1 .LBB28_80
; %bb.81:
	v_mbcnt_lo_u32_b32 v3, exec_lo, 0
	v_mbcnt_hi_u32_b32 v3, exec_hi, v3
	v_cmp_eq_u32_e32 vcc, 0, v3
	s_and_saveexec_b64 s[4:5], vcc
	s_xor_b64 s[4:5], exec, s[4:5]
	s_cbranch_execz .LBB28_83
; %bb.82:
	v_mov_b32_e32 v3, 0
	v_mov_b32_e32 v4, s8
	global_atomic_smin v3, v4, s[22:23]
.LBB28_83:
	s_or_b64 exec, exec, s[0:1]
	v_cmp_eq_f32_e32 vcc, 0, v8
	v_cmp_eq_f32_e64 s[0:1], 0, v9
	s_and_b64 s[0:1], vcc, s[0:1]
	s_and_b64 s[0:1], s[2:3], s[0:1]
	s_and_b64 exec, exec, s[0:1]
	s_cbranch_execz .LBB28_88
; %bb.84:
	s_mov_b64 s[0:1], exec
	s_brev_b32 s2, -2
.LBB28_85:                              ; =>This Inner Loop Header: Depth=1
	s_ff1_i32_b64 s3, s[0:1]
	v_readlane_b32 s8, v0, s3
	s_lshl_b64 s[4:5], 1, s3
	s_min_i32 s2, s2, s8
	s_andn2_b64 s[0:1], s[0:1], s[4:5]
	s_cmp_lg_u64 s[0:1], 0
	s_cbranch_scc1 .LBB28_85
; %bb.86:
	v_mbcnt_lo_u32_b32 v0, exec_lo, 0
	v_mbcnt_hi_u32_b32 v0, exec_hi, v0
	v_cmp_eq_u32_e32 vcc, 0, v0
	s_and_saveexec_b64 s[0:1], vcc
	s_xor_b64 s[0:1], exec, s[0:1]
	s_cbranch_execz .LBB28_88
; %bb.87:
	v_mov_b32_e32 v0, 0
	v_mov_b32_e32 v3, s2
	global_atomic_smin v0, v3, s[20:21]
.LBB28_88:
	s_or_b64 exec, exec, s[6:7]
	v_cmp_eq_u32_e32 vcc, 0, v17
	s_waitcnt vmcnt(0)
	buffer_wbinvl1_vol
	s_and_b64 exec, exec, vcc
	s_cbranch_execz .LBB28_90
; %bb.89:
	v_mov_b32_e32 v3, s17
	v_add_co_u32_e32 v0, vcc, s16, v1
	v_addc_co_u32_e32 v1, vcc, v3, v2, vcc
	v_mov_b32_e32 v2, 1
	global_store_dword v[0:1], v2, off
.LBB28_90:
	s_endpgm
	.section	.rodata,"a",@progbits
	.p2align	6, 0x0
	.amdhsa_kernel _ZN9rocsparseL12csrilu0_hashILj256ELj32ELj2E21rocsparse_complex_numIfEEEviPKiS4_PT2_S4_PiS4_S7_S7_d21rocsparse_index_base_imNS_24const_host_device_scalarIfEENS9_IdEENS9_IS5_EEb
		.amdhsa_group_segment_fixed_size 4096
		.amdhsa_private_segment_fixed_size 0
		.amdhsa_kernarg_size 124
		.amdhsa_user_sgpr_count 6
		.amdhsa_user_sgpr_private_segment_buffer 1
		.amdhsa_user_sgpr_dispatch_ptr 0
		.amdhsa_user_sgpr_queue_ptr 0
		.amdhsa_user_sgpr_kernarg_segment_ptr 1
		.amdhsa_user_sgpr_dispatch_id 0
		.amdhsa_user_sgpr_flat_scratch_init 0
		.amdhsa_user_sgpr_private_segment_size 0
		.amdhsa_uses_dynamic_stack 0
		.amdhsa_system_sgpr_private_segment_wavefront_offset 0
		.amdhsa_system_sgpr_workgroup_id_x 1
		.amdhsa_system_sgpr_workgroup_id_y 0
		.amdhsa_system_sgpr_workgroup_id_z 0
		.amdhsa_system_sgpr_workgroup_info 0
		.amdhsa_system_vgpr_workitem_id 0
		.amdhsa_next_free_vgpr 31
		.amdhsa_next_free_sgpr 62
		.amdhsa_reserve_vcc 1
		.amdhsa_reserve_flat_scratch 0
		.amdhsa_float_round_mode_32 0
		.amdhsa_float_round_mode_16_64 0
		.amdhsa_float_denorm_mode_32 3
		.amdhsa_float_denorm_mode_16_64 3
		.amdhsa_dx10_clamp 1
		.amdhsa_ieee_mode 1
		.amdhsa_fp16_overflow 0
		.amdhsa_exception_fp_ieee_invalid_op 0
		.amdhsa_exception_fp_denorm_src 0
		.amdhsa_exception_fp_ieee_div_zero 0
		.amdhsa_exception_fp_ieee_overflow 0
		.amdhsa_exception_fp_ieee_underflow 0
		.amdhsa_exception_fp_ieee_inexact 0
		.amdhsa_exception_int_div_zero 0
	.end_amdhsa_kernel
	.section	.text._ZN9rocsparseL12csrilu0_hashILj256ELj32ELj2E21rocsparse_complex_numIfEEEviPKiS4_PT2_S4_PiS4_S7_S7_d21rocsparse_index_base_imNS_24const_host_device_scalarIfEENS9_IdEENS9_IS5_EEb,"axG",@progbits,_ZN9rocsparseL12csrilu0_hashILj256ELj32ELj2E21rocsparse_complex_numIfEEEviPKiS4_PT2_S4_PiS4_S7_S7_d21rocsparse_index_base_imNS_24const_host_device_scalarIfEENS9_IdEENS9_IS5_EEb,comdat
.Lfunc_end28:
	.size	_ZN9rocsparseL12csrilu0_hashILj256ELj32ELj2E21rocsparse_complex_numIfEEEviPKiS4_PT2_S4_PiS4_S7_S7_d21rocsparse_index_base_imNS_24const_host_device_scalarIfEENS9_IdEENS9_IS5_EEb, .Lfunc_end28-_ZN9rocsparseL12csrilu0_hashILj256ELj32ELj2E21rocsparse_complex_numIfEEEviPKiS4_PT2_S4_PiS4_S7_S7_d21rocsparse_index_base_imNS_24const_host_device_scalarIfEENS9_IdEENS9_IS5_EEb
                                        ; -- End function
	.set _ZN9rocsparseL12csrilu0_hashILj256ELj32ELj2E21rocsparse_complex_numIfEEEviPKiS4_PT2_S4_PiS4_S7_S7_d21rocsparse_index_base_imNS_24const_host_device_scalarIfEENS9_IdEENS9_IS5_EEb.num_vgpr, 31
	.set _ZN9rocsparseL12csrilu0_hashILj256ELj32ELj2E21rocsparse_complex_numIfEEEviPKiS4_PT2_S4_PiS4_S7_S7_d21rocsparse_index_base_imNS_24const_host_device_scalarIfEENS9_IdEENS9_IS5_EEb.num_agpr, 0
	.set _ZN9rocsparseL12csrilu0_hashILj256ELj32ELj2E21rocsparse_complex_numIfEEEviPKiS4_PT2_S4_PiS4_S7_S7_d21rocsparse_index_base_imNS_24const_host_device_scalarIfEENS9_IdEENS9_IS5_EEb.numbered_sgpr, 62
	.set _ZN9rocsparseL12csrilu0_hashILj256ELj32ELj2E21rocsparse_complex_numIfEEEviPKiS4_PT2_S4_PiS4_S7_S7_d21rocsparse_index_base_imNS_24const_host_device_scalarIfEENS9_IdEENS9_IS5_EEb.num_named_barrier, 0
	.set _ZN9rocsparseL12csrilu0_hashILj256ELj32ELj2E21rocsparse_complex_numIfEEEviPKiS4_PT2_S4_PiS4_S7_S7_d21rocsparse_index_base_imNS_24const_host_device_scalarIfEENS9_IdEENS9_IS5_EEb.private_seg_size, 0
	.set _ZN9rocsparseL12csrilu0_hashILj256ELj32ELj2E21rocsparse_complex_numIfEEEviPKiS4_PT2_S4_PiS4_S7_S7_d21rocsparse_index_base_imNS_24const_host_device_scalarIfEENS9_IdEENS9_IS5_EEb.uses_vcc, 1
	.set _ZN9rocsparseL12csrilu0_hashILj256ELj32ELj2E21rocsparse_complex_numIfEEEviPKiS4_PT2_S4_PiS4_S7_S7_d21rocsparse_index_base_imNS_24const_host_device_scalarIfEENS9_IdEENS9_IS5_EEb.uses_flat_scratch, 0
	.set _ZN9rocsparseL12csrilu0_hashILj256ELj32ELj2E21rocsparse_complex_numIfEEEviPKiS4_PT2_S4_PiS4_S7_S7_d21rocsparse_index_base_imNS_24const_host_device_scalarIfEENS9_IdEENS9_IS5_EEb.has_dyn_sized_stack, 0
	.set _ZN9rocsparseL12csrilu0_hashILj256ELj32ELj2E21rocsparse_complex_numIfEEEviPKiS4_PT2_S4_PiS4_S7_S7_d21rocsparse_index_base_imNS_24const_host_device_scalarIfEENS9_IdEENS9_IS5_EEb.has_recursion, 0
	.set _ZN9rocsparseL12csrilu0_hashILj256ELj32ELj2E21rocsparse_complex_numIfEEEviPKiS4_PT2_S4_PiS4_S7_S7_d21rocsparse_index_base_imNS_24const_host_device_scalarIfEENS9_IdEENS9_IS5_EEb.has_indirect_call, 0
	.section	.AMDGPU.csdata,"",@progbits
; Kernel info:
; codeLenInByte = 3120
; TotalNumSgprs: 66
; NumVgprs: 31
; ScratchSize: 0
; MemoryBound: 0
; FloatMode: 240
; IeeeMode: 1
; LDSByteSize: 4096 bytes/workgroup (compile time only)
; SGPRBlocks: 8
; VGPRBlocks: 7
; NumSGPRsForWavesPerEU: 66
; NumVGPRsForWavesPerEU: 31
; Occupancy: 8
; WaveLimiterHint : 1
; COMPUTE_PGM_RSRC2:SCRATCH_EN: 0
; COMPUTE_PGM_RSRC2:USER_SGPR: 6
; COMPUTE_PGM_RSRC2:TRAP_HANDLER: 0
; COMPUTE_PGM_RSRC2:TGID_X_EN: 1
; COMPUTE_PGM_RSRC2:TGID_Y_EN: 0
; COMPUTE_PGM_RSRC2:TGID_Z_EN: 0
; COMPUTE_PGM_RSRC2:TIDIG_COMP_CNT: 0
	.section	.text._ZN9rocsparseL12csrilu0_hashILj256ELj32ELj4E21rocsparse_complex_numIfEEEviPKiS4_PT2_S4_PiS4_S7_S7_d21rocsparse_index_base_imNS_24const_host_device_scalarIfEENS9_IdEENS9_IS5_EEb,"axG",@progbits,_ZN9rocsparseL12csrilu0_hashILj256ELj32ELj4E21rocsparse_complex_numIfEEEviPKiS4_PT2_S4_PiS4_S7_S7_d21rocsparse_index_base_imNS_24const_host_device_scalarIfEENS9_IdEENS9_IS5_EEb,comdat
	.globl	_ZN9rocsparseL12csrilu0_hashILj256ELj32ELj4E21rocsparse_complex_numIfEEEviPKiS4_PT2_S4_PiS4_S7_S7_d21rocsparse_index_base_imNS_24const_host_device_scalarIfEENS9_IdEENS9_IS5_EEb ; -- Begin function _ZN9rocsparseL12csrilu0_hashILj256ELj32ELj4E21rocsparse_complex_numIfEEEviPKiS4_PT2_S4_PiS4_S7_S7_d21rocsparse_index_base_imNS_24const_host_device_scalarIfEENS9_IdEENS9_IS5_EEb
	.p2align	8
	.type	_ZN9rocsparseL12csrilu0_hashILj256ELj32ELj4E21rocsparse_complex_numIfEEEviPKiS4_PT2_S4_PiS4_S7_S7_d21rocsparse_index_base_imNS_24const_host_device_scalarIfEENS9_IdEENS9_IS5_EEb,@function
_ZN9rocsparseL12csrilu0_hashILj256ELj32ELj4E21rocsparse_complex_numIfEEEviPKiS4_PT2_S4_PiS4_S7_S7_d21rocsparse_index_base_imNS_24const_host_device_scalarIfEENS9_IdEENS9_IS5_EEb: ; @_ZN9rocsparseL12csrilu0_hashILj256ELj32ELj4E21rocsparse_complex_numIfEEEviPKiS4_PT2_S4_PiS4_S7_S7_d21rocsparse_index_base_imNS_24const_host_device_scalarIfEENS9_IdEENS9_IS5_EEb
; %bb.0:
	s_load_dword s0, s[4:5], 0x78
	s_load_dwordx2 s[34:35], s[4:5], 0x50
	s_load_dwordx8 s[24:31], s[4:5], 0x58
	s_waitcnt lgkmcnt(0)
	s_bitcmp1_b32 s0, 0
	s_cselect_b64 s[2:3], -1, 0
	s_cmp_eq_u32 s35, 0
	s_cselect_b64 s[12:13], -1, 0
	s_cmp_lg_u32 s35, 0
	s_cselect_b64 s[8:9], -1, 0
	s_or_b64 s[14:15], s[12:13], s[2:3]
	s_xor_b64 s[0:1], s[14:15], -1
	s_and_b64 s[10:11], s[12:13], exec
	s_cselect_b32 s11, 0, s29
	s_cselect_b32 s10, 0, s28
	s_and_b64 vcc, exec, s[14:15]
	s_cbranch_vccnz .LBB29_2
; %bb.1:
	s_load_dword s7, s[26:27], 0x0
	s_mov_b64 s[10:11], s[28:29]
	s_waitcnt lgkmcnt(0)
	v_mov_b32_e32 v18, s7
	v_mov_b32_e32 v3, s10
	s_andn2_b64 vcc, exec, s[0:1]
	v_mov_b32_e32 v4, s11
	s_cbranch_vccz .LBB29_3
	s_branch .LBB29_4
.LBB29_2:
	v_mov_b32_e32 v1, s26
	v_cndmask_b32_e64 v18, v1, 0, s[12:13]
	v_mov_b32_e32 v3, s10
	s_andn2_b64 vcc, exec, s[0:1]
	v_mov_b32_e32 v4, s11
	s_cbranch_vccnz .LBB29_4
.LBB29_3:
	v_mov_b32_e32 v1, s28
	v_mov_b32_e32 v2, s29
	flat_load_dwordx2 v[3:4], v[1:2]
.LBB29_4:
	v_cndmask_b32_e64 v1, 0, 1, s[8:9]
	s_mov_b32 s33, 0
	v_cmp_ne_u32_e64 s[0:1], 1, v1
	s_andn2_b64 vcc, exec, s[8:9]
	s_mov_b32 s35, 0
	s_cbranch_vccnz .LBB29_10
; %bb.5:
	s_xor_b64 s[8:9], s[2:3], -1
	v_cndmask_b32_e64 v1, 0, 1, s[8:9]
	v_cmp_ne_u32_e64 s[2:3], 1, v1
	s_andn2_b64 vcc, exec, s[8:9]
	s_mov_b32 s33, s30
	s_cbranch_vccnz .LBB29_7
; %bb.6:
	s_load_dword s33, s[30:31], 0x0
.LBB29_7:
	s_and_b64 vcc, exec, s[2:3]
	s_cbranch_vccnz .LBB29_9
; %bb.8:
	s_load_dword s31, s[30:31], 0x4
.LBB29_9:
	s_waitcnt lgkmcnt(0)
	s_mov_b32 s35, s31
.LBB29_10:
	v_and_b32_e32 v17, 31, v0
	v_lshrrev_b32_e32 v1, 5, v0
	v_lshlrev_b32_e32 v5, 9, v1
	v_lshlrev_b32_e32 v6, 2, v17
	s_movk_i32 s2, 0x1000
	v_or_b32_e32 v2, 0xffffffe0, v17
	v_or3_b32 v5, v5, v6, s2
	s_mov_b64 s[2:3], 0
	v_mov_b32_e32 v6, -1
	s_movk_i32 s7, 0x5f
.LBB29_11:                              ; =>This Inner Loop Header: Depth=1
	v_add_u32_e32 v2, 32, v2
	v_cmp_lt_u32_e32 vcc, s7, v2
	ds_write_b32 v5, v6
	s_or_b64 s[2:3], vcc, s[2:3]
	v_add_u32_e32 v5, 0x80, v5
	s_andn2_b64 exec, exec, s[2:3]
	s_cbranch_execnz .LBB29_11
; %bb.12:
	s_or_b64 exec, exec, s[2:3]
	s_load_dword s2, s[4:5], 0x0
	s_lshl_b32 s3, s6, 3
	s_and_b32 s3, s3, 0x7fffff8
	v_or_b32_e32 v1, s3, v1
	s_waitcnt lgkmcnt(0)
	v_cmp_gt_i32_e32 vcc, s2, v1
	s_and_saveexec_b64 s[2:3], vcc
	s_cbranch_execz .LBB29_90
; %bb.13:
	s_load_dwordx16 s[8:23], s[4:5], 0x8
	v_lshlrev_b32_e32 v1, 2, v1
	v_lshlrev_b32_e32 v0, 4, v0
	v_and_b32_e32 v0, 0xe00, v0
	v_or_b32_e32 v19, 0x1000, v0
	s_waitcnt lgkmcnt(0)
	global_load_dword v5, v1, s[18:19]
	v_mov_b32_e32 v7, s9
	v_mov_b32_e32 v10, s15
	s_waitcnt vmcnt(0)
	v_ashrrev_i32_e32 v6, 31, v5
	v_lshlrev_b64 v[1:2], 2, v[5:6]
	v_add_co_u32_e32 v6, vcc, s8, v1
	v_addc_co_u32_e32 v7, vcc, v7, v2, vcc
	global_load_dwordx2 v[7:8], v[6:7], off
	v_add_co_u32_e32 v9, vcc, s14, v1
	v_addc_co_u32_e32 v10, vcc, v10, v2, vcc
	global_load_dword v6, v[9:10], off
	s_waitcnt vmcnt(1)
	v_subrev_u32_e32 v7, s34, v7
	v_subrev_u32_e32 v10, s34, v8
	v_add_u32_e32 v8, v7, v17
	v_cmp_lt_i32_e32 vcc, v8, v10
	s_and_saveexec_b64 s[2:3], vcc
	s_cbranch_execz .LBB29_36
; %bb.14:
	s_mov_b64 s[6:7], 0
	v_mov_b32_e32 v11, s11
	s_movk_i32 s56, 0x67
	v_mov_b32_e32 v12, -1
	s_branch .LBB29_16
.LBB29_15:                              ;   in Loop: Header=BB29_16 Depth=1
	s_or_b64 exec, exec, s[18:19]
	v_add_u32_e32 v8, 32, v8
	v_cmp_ge_i32_e32 vcc, v8, v10
	s_or_b64 s[6:7], vcc, s[6:7]
	s_andn2_b64 exec, exec, s[6:7]
	s_cbranch_execz .LBB29_36
.LBB29_16:                              ; =>This Loop Header: Depth=1
                                        ;     Child Loop BB29_25 Depth 2
	v_ashrrev_i32_e32 v9, 31, v8
	v_lshlrev_b64 v[13:14], 2, v[8:9]
	s_mov_b64 s[26:27], 0
	v_add_co_u32_e32 v13, vcc, s10, v13
	v_addc_co_u32_e32 v14, vcc, v11, v14, vcc
	global_load_dword v9, v[13:14], off
	v_mov_b32_e32 v13, 0x80
                                        ; implicit-def: $sgpr18_sgpr19
                                        ; implicit-def: $sgpr28_sgpr29
                                        ; implicit-def: $sgpr30_sgpr31
	s_waitcnt vmcnt(0)
	v_mul_lo_u32 v15, v9, s56
	s_branch .LBB29_25
.LBB29_17:                              ;   in Loop: Header=BB29_25 Depth=2
	s_or_b64 exec, exec, s[54:55]
	s_orn2_b64 s[50:51], s[50:51], exec
	s_orn2_b64 s[52:53], s[52:53], exec
.LBB29_18:                              ;   in Loop: Header=BB29_25 Depth=2
	s_or_b64 exec, exec, s[48:49]
	s_and_b64 s[50:51], s[50:51], exec
	s_orn2_b64 s[48:49], s[52:53], exec
.LBB29_19:                              ;   in Loop: Header=BB29_25 Depth=2
	s_or_b64 exec, exec, s[46:47]
	s_orn2_b64 s[50:51], s[50:51], exec
	s_orn2_b64 s[46:47], s[48:49], exec
.LBB29_20:                              ;   in Loop: Header=BB29_25 Depth=2
	s_or_b64 exec, exec, s[44:45]
	s_and_b64 s[48:49], s[50:51], exec
	s_orn2_b64 s[44:45], s[46:47], exec
.LBB29_21:                              ;   in Loop: Header=BB29_25 Depth=2
	s_or_b64 exec, exec, s[42:43]
	s_orn2_b64 s[42:43], s[48:49], exec
	s_orn2_b64 s[44:45], s[44:45], exec
.LBB29_22:                              ;   in Loop: Header=BB29_25 Depth=2
	s_or_b64 exec, exec, s[40:41]
	s_and_b64 s[42:43], s[42:43], exec
	s_orn2_b64 s[40:41], s[44:45], exec
.LBB29_23:                              ;   in Loop: Header=BB29_25 Depth=2
	s_or_b64 exec, exec, s[38:39]
	s_andn2_b64 s[30:31], s[30:31], exec
	s_and_b64 s[38:39], s[42:43], exec
	s_or_b64 s[30:31], s[30:31], s[38:39]
	s_andn2_b64 s[28:29], s[28:29], exec
	s_and_b64 s[38:39], s[40:41], exec
	s_or_b64 s[28:29], s[28:29], s[38:39]
.LBB29_24:                              ;   in Loop: Header=BB29_25 Depth=2
	s_or_b64 exec, exec, s[36:37]
	s_and_b64 s[36:37], exec, s[28:29]
	s_or_b64 s[26:27], s[36:37], s[26:27]
	s_andn2_b64 s[18:19], s[18:19], exec
	s_and_b64 s[36:37], s[30:31], exec
	s_or_b64 s[18:19], s[18:19], s[36:37]
	s_andn2_b64 exec, exec, s[26:27]
	s_cbranch_execz .LBB29_34
.LBB29_25:                              ;   Parent Loop BB29_16 Depth=1
                                        ; =>  This Inner Loop Header: Depth=2
	v_and_b32_e32 v14, 0x7f, v15
	v_lshl_add_u32 v16, v14, 2, v19
	ds_read_b32 v20, v16
	s_or_b64 s[30:31], s[30:31], exec
	s_or_b64 s[28:29], s[28:29], exec
	s_waitcnt lgkmcnt(0)
	v_cmp_ne_u32_e32 vcc, v20, v9
	s_and_saveexec_b64 s[36:37], vcc
	s_cbranch_execz .LBB29_24
; %bb.26:                               ;   in Loop: Header=BB29_25 Depth=2
	ds_cmpst_rtn_b32 v16, v16, v12, v9
	s_mov_b64 s[40:41], -1
	s_mov_b64 s[42:43], 0
	s_waitcnt lgkmcnt(0)
	v_cmp_ne_u32_e32 vcc, -1, v16
	s_and_saveexec_b64 s[38:39], vcc
	s_cbranch_execz .LBB29_23
; %bb.27:                               ;   in Loop: Header=BB29_25 Depth=2
	v_add_u32_e32 v14, 1, v15
	v_and_b32_e32 v14, 0x7f, v14
	v_lshl_add_u32 v16, v14, 2, v19
	ds_read_b32 v20, v16
	s_mov_b64 s[44:45], -1
	s_mov_b64 s[42:43], -1
	s_waitcnt lgkmcnt(0)
	v_cmp_ne_u32_e32 vcc, v20, v9
	s_and_saveexec_b64 s[40:41], vcc
	s_cbranch_execz .LBB29_22
; %bb.28:                               ;   in Loop: Header=BB29_25 Depth=2
	ds_cmpst_rtn_b32 v16, v16, v12, v9
	s_mov_b64 s[48:49], 0
	s_waitcnt lgkmcnt(0)
	v_cmp_ne_u32_e32 vcc, -1, v16
	s_and_saveexec_b64 s[42:43], vcc
	s_cbranch_execz .LBB29_21
; %bb.29:                               ;   in Loop: Header=BB29_25 Depth=2
	v_add_u32_e32 v14, 2, v15
	v_and_b32_e32 v14, 0x7f, v14
	v_lshl_add_u32 v16, v14, 2, v19
	ds_read_b32 v20, v16
	s_mov_b64 s[46:47], -1
	s_mov_b64 s[50:51], -1
	s_waitcnt lgkmcnt(0)
	v_cmp_ne_u32_e32 vcc, v20, v9
	s_and_saveexec_b64 s[44:45], vcc
	s_cbranch_execz .LBB29_20
; %bb.30:                               ;   in Loop: Header=BB29_25 Depth=2
	ds_cmpst_rtn_b32 v16, v16, v12, v9
	s_mov_b64 s[48:49], -1
	s_mov_b64 s[50:51], 0
	s_waitcnt lgkmcnt(0)
	v_cmp_ne_u32_e32 vcc, -1, v16
	s_and_saveexec_b64 s[46:47], vcc
	s_cbranch_execz .LBB29_19
; %bb.31:                               ;   in Loop: Header=BB29_25 Depth=2
	v_add_u32_e32 v14, 3, v15
	v_and_b32_e32 v14, 0x7f, v14
	v_lshl_add_u32 v16, v14, 2, v19
	ds_read_b32 v15, v16
	s_mov_b64 s[52:53], -1
	s_mov_b64 s[50:51], -1
	s_waitcnt lgkmcnt(0)
	v_cmp_ne_u32_e32 vcc, v15, v9
                                        ; implicit-def: $vgpr15
	s_and_saveexec_b64 s[48:49], vcc
	s_cbranch_execz .LBB29_18
; %bb.32:                               ;   in Loop: Header=BB29_25 Depth=2
	ds_cmpst_rtn_b32 v15, v16, v12, v9
	s_mov_b64 s[50:51], 0
	s_waitcnt lgkmcnt(0)
	v_cmp_ne_u32_e32 vcc, -1, v15
                                        ; implicit-def: $vgpr15
	s_and_saveexec_b64 s[54:55], vcc
	s_cbranch_execz .LBB29_17
; %bb.33:                               ;   in Loop: Header=BB29_25 Depth=2
	v_add_u32_e32 v13, -4, v13
	v_cmp_eq_u32_e32 vcc, 0, v13
	s_mov_b64 s[50:51], exec
	v_add_u32_e32 v15, 1, v14
	s_orn2_b64 s[52:53], vcc, exec
	s_branch .LBB29_17
.LBB29_34:                              ;   in Loop: Header=BB29_16 Depth=1
	s_or_b64 exec, exec, s[26:27]
	s_xor_b64 s[18:19], s[18:19], -1
	s_and_saveexec_b64 s[26:27], s[18:19]
	s_xor_b64 s[18:19], exec, s[26:27]
	s_cbranch_execz .LBB29_15
; %bb.35:                               ;   in Loop: Header=BB29_16 Depth=1
	v_lshl_add_u32 v9, v14, 2, v0
	ds_write_b32 v9, v8
	s_branch .LBB29_15
.LBB29_36:
	s_or_b64 exec, exec, s[2:3]
	s_waitcnt vmcnt(0)
	v_cmp_lt_i32_e32 vcc, v7, v6
	s_waitcnt lgkmcnt(0)
	s_and_saveexec_b64 s[6:7], vcc
	s_cbranch_execz .LBB29_66
; %bb.37:
	v_add_u32_e32 v20, 1, v17
	s_mov_b64 s[18:19], 0
	v_mov_b32_e32 v21, s11
	v_mov_b32_e32 v22, s13
	;; [unrolled: 1-line block ×5, first 2 shown]
	s_movk_i32 s9, 0x67
	s_branch .LBB29_40
.LBB29_38:                              ;   in Loop: Header=BB29_40 Depth=1
	s_or_b64 exec, exec, s[26:27]
	v_add_u32_e32 v7, 1, v7
	v_cmp_ge_i32_e32 vcc, v7, v6
	s_orn2_b64 s[26:27], vcc, exec
.LBB29_39:                              ;   in Loop: Header=BB29_40 Depth=1
	s_or_b64 exec, exec, s[2:3]
	s_and_b64 s[2:3], exec, s[26:27]
	s_or_b64 s[18:19], s[2:3], s[18:19]
	s_andn2_b64 exec, exec, s[18:19]
	s_cbranch_execz .LBB29_66
.LBB29_40:                              ; =>This Loop Header: Depth=1
                                        ;     Child Loop BB29_41 Depth 2
                                        ;     Child Loop BB29_46 Depth 2
                                        ;       Child Loop BB29_55 Depth 3
	v_ashrrev_i32_e32 v8, 31, v7
	v_lshlrev_b64 v[9:10], 2, v[7:8]
	s_mov_b64 s[2:3], 0
	v_add_co_u32_e32 v9, vcc, s10, v9
	v_addc_co_u32_e32 v10, vcc, v21, v10, vcc
	global_load_dword v11, v[9:10], off
	v_lshlrev_b64 v[8:9], 3, v[7:8]
	v_add_co_u32_e32 v12, vcc, s12, v8
	v_addc_co_u32_e32 v13, vcc, v22, v9, vcc
	global_load_dwordx2 v[9:10], v[12:13], off
	s_waitcnt vmcnt(1)
	v_subrev_u32_e32 v14, s34, v11
	v_ashrrev_i32_e32 v15, 31, v14
	v_lshlrev_b64 v[14:15], 2, v[14:15]
	v_add_co_u32_e32 v26, vcc, s8, v14
	v_addc_co_u32_e32 v27, vcc, v23, v15, vcc
	v_add_co_u32_e32 v28, vcc, s14, v14
	v_addc_co_u32_e32 v29, vcc, v24, v15, vcc
	global_load_dword v8, v[26:27], off offset:4
	global_load_dword v11, v[28:29], off
	v_add_co_u32_e32 v14, vcc, s16, v14
	v_addc_co_u32_e32 v15, vcc, v25, v15, vcc
.LBB29_41:                              ;   Parent Loop BB29_40 Depth=1
                                        ; =>  This Inner Loop Header: Depth=2
	global_load_dword v16, v[14:15], off glc
	s_waitcnt vmcnt(0)
	v_cmp_ne_u32_e32 vcc, 0, v16
	s_or_b64 s[2:3], vcc, s[2:3]
	s_andn2_b64 exec, exec, s[2:3]
	s_cbranch_execnz .LBB29_41
; %bb.42:                               ;   in Loop: Header=BB29_40 Depth=1
	s_or_b64 exec, exec, s[2:3]
	v_subrev_u32_e32 v26, s34, v8
	v_add_u32_e32 v8, -1, v26
	v_cmp_eq_u32_e32 vcc, -1, v11
	v_cndmask_b32_e32 v14, v11, v8, vcc
	v_ashrrev_i32_e32 v15, 31, v14
	v_lshlrev_b64 v[15:16], 3, v[14:15]
	buffer_wbinvl1_vol
	v_add_co_u32_e32 v15, vcc, s12, v15
	v_addc_co_u32_e32 v16, vcc, v22, v16, vcc
	global_load_dwordx2 v[15:16], v[15:16], off
	s_mov_b64 s[26:27], -1
	s_waitcnt vmcnt(0)
	v_cmp_neq_f32_e32 vcc, 0, v15
	v_cmp_neq_f32_e64 s[2:3], 0, v16
	s_or_b64 s[28:29], vcc, s[2:3]
	s_and_saveexec_b64 s[2:3], s[28:29]
	s_cbranch_execz .LBB29_39
; %bb.43:                               ;   in Loop: Header=BB29_40 Depth=1
	v_mul_f32_e32 v11, v16, v16
	v_fmac_f32_e32 v11, v15, v15
	v_div_scale_f32 v8, s[26:27], v11, v11, 1.0
	v_div_scale_f32 v27, vcc, 1.0, v11, 1.0
	v_rcp_f32_e32 v28, v8
	v_fma_f32 v29, -v8, v28, 1.0
	v_fmac_f32_e32 v28, v29, v28
	v_mul_f32_e32 v29, v27, v28
	v_fma_f32 v30, -v8, v29, v27
	v_fmac_f32_e32 v29, v30, v28
	v_fma_f32 v8, -v8, v29, v27
	v_div_fmas_f32 v27, v8, v28, v29
	v_mul_f32_e32 v28, v10, v16
	v_mul_f32_e64 v16, v16, -v9
	v_add_u32_e32 v8, v20, v14
	v_fmac_f32_e32 v28, v9, v15
	v_fmac_f32_e32 v16, v10, v15
	v_cmp_lt_i32_e32 vcc, v8, v26
	v_div_fixup_f32 v9, v27, v11, 1.0
	v_mul_f32_e32 v10, v28, v9
	v_mul_f32_e32 v11, v16, v9
	global_store_dwordx2 v[12:13], v[10:11], off
	s_and_saveexec_b64 s[26:27], vcc
	s_cbranch_execz .LBB29_38
; %bb.44:                               ;   in Loop: Header=BB29_40 Depth=1
	s_mov_b64 s[28:29], 0
	s_branch .LBB29_46
.LBB29_45:                              ;   in Loop: Header=BB29_46 Depth=2
	s_or_b64 exec, exec, s[30:31]
	v_add_u32_e32 v8, 32, v8
	v_cmp_ge_i32_e32 vcc, v8, v26
	s_or_b64 s[28:29], vcc, s[28:29]
	s_andn2_b64 exec, exec, s[28:29]
	s_cbranch_execz .LBB29_38
.LBB29_46:                              ;   Parent Loop BB29_40 Depth=1
                                        ; =>  This Loop Header: Depth=2
                                        ;       Child Loop BB29_55 Depth 3
	v_ashrrev_i32_e32 v9, 31, v8
	v_lshlrev_b64 v[12:13], 2, v[8:9]
	s_mov_b64 s[36:37], 0
	v_add_co_u32_e32 v12, vcc, s10, v12
	v_addc_co_u32_e32 v13, vcc, v21, v13, vcc
	global_load_dword v12, v[12:13], off
	v_mov_b32_e32 v13, 0x80
                                        ; implicit-def: $sgpr30_sgpr31
                                        ; implicit-def: $sgpr38_sgpr39
                                        ; implicit-def: $sgpr40_sgpr41
	s_waitcnt vmcnt(0)
	v_mul_lo_u32 v15, v12, s9
	s_branch .LBB29_55
.LBB29_47:                              ;   in Loop: Header=BB29_55 Depth=3
	s_or_b64 exec, exec, s[60:61]
	s_orn2_b64 s[56:57], s[56:57], exec
	s_orn2_b64 s[58:59], s[58:59], exec
.LBB29_48:                              ;   in Loop: Header=BB29_55 Depth=3
	s_or_b64 exec, exec, s[54:55]
	s_and_b64 s[56:57], s[56:57], exec
	s_orn2_b64 s[54:55], s[58:59], exec
.LBB29_49:                              ;   in Loop: Header=BB29_55 Depth=3
	s_or_b64 exec, exec, s[52:53]
	s_orn2_b64 s[56:57], s[56:57], exec
	s_orn2_b64 s[52:53], s[54:55], exec
.LBB29_50:                              ;   in Loop: Header=BB29_55 Depth=3
	s_or_b64 exec, exec, s[50:51]
	s_and_b64 s[54:55], s[56:57], exec
	s_orn2_b64 s[50:51], s[52:53], exec
.LBB29_51:                              ;   in Loop: Header=BB29_55 Depth=3
	s_or_b64 exec, exec, s[48:49]
	s_orn2_b64 s[48:49], s[54:55], exec
	s_orn2_b64 s[50:51], s[50:51], exec
.LBB29_52:                              ;   in Loop: Header=BB29_55 Depth=3
	s_or_b64 exec, exec, s[46:47]
	s_and_b64 s[48:49], s[48:49], exec
	s_orn2_b64 s[46:47], s[50:51], exec
.LBB29_53:                              ;   in Loop: Header=BB29_55 Depth=3
	s_or_b64 exec, exec, s[44:45]
	s_andn2_b64 s[40:41], s[40:41], exec
	s_and_b64 s[44:45], s[48:49], exec
	s_or_b64 s[40:41], s[40:41], s[44:45]
	s_andn2_b64 s[38:39], s[38:39], exec
	s_and_b64 s[44:45], s[46:47], exec
	s_or_b64 s[38:39], s[38:39], s[44:45]
.LBB29_54:                              ;   in Loop: Header=BB29_55 Depth=3
	s_or_b64 exec, exec, s[42:43]
	s_and_b64 s[42:43], exec, s[38:39]
	s_or_b64 s[36:37], s[42:43], s[36:37]
	s_andn2_b64 s[30:31], s[30:31], exec
	s_and_b64 s[42:43], s[40:41], exec
	s_or_b64 s[30:31], s[30:31], s[42:43]
	s_andn2_b64 exec, exec, s[36:37]
	s_cbranch_execz .LBB29_64
.LBB29_55:                              ;   Parent Loop BB29_40 Depth=1
                                        ;     Parent Loop BB29_46 Depth=2
                                        ; =>    This Inner Loop Header: Depth=3
	v_and_b32_e32 v14, 0x7f, v15
	v_lshl_add_u32 v16, v14, 2, v19
	ds_read_b32 v16, v16
	s_or_b64 s[40:41], s[40:41], exec
	s_or_b64 s[38:39], s[38:39], exec
	s_waitcnt lgkmcnt(0)
	v_cmp_ne_u32_e32 vcc, -1, v16
	s_and_saveexec_b64 s[42:43], vcc
	s_cbranch_execz .LBB29_54
; %bb.56:                               ;   in Loop: Header=BB29_55 Depth=3
	v_cmp_ne_u32_e32 vcc, v16, v12
	s_mov_b64 s[46:47], -1
	s_mov_b64 s[48:49], 0
	s_and_saveexec_b64 s[44:45], vcc
	s_cbranch_execz .LBB29_53
; %bb.57:                               ;   in Loop: Header=BB29_55 Depth=3
	v_add_u32_e32 v14, 1, v15
	v_and_b32_e32 v14, 0x7f, v14
	v_lshl_add_u32 v16, v14, 2, v19
	ds_read_b32 v16, v16
	s_mov_b64 s[50:51], -1
	s_mov_b64 s[48:49], -1
	s_waitcnt lgkmcnt(0)
	v_cmp_ne_u32_e32 vcc, -1, v16
	s_and_saveexec_b64 s[46:47], vcc
	s_cbranch_execz .LBB29_52
; %bb.58:                               ;   in Loop: Header=BB29_55 Depth=3
	v_cmp_ne_u32_e32 vcc, v16, v12
	s_mov_b64 s[54:55], 0
	s_and_saveexec_b64 s[48:49], vcc
	s_cbranch_execz .LBB29_51
; %bb.59:                               ;   in Loop: Header=BB29_55 Depth=3
	v_add_u32_e32 v14, 2, v15
	v_and_b32_e32 v14, 0x7f, v14
	v_lshl_add_u32 v16, v14, 2, v19
	ds_read_b32 v16, v16
	s_mov_b64 s[52:53], -1
	s_mov_b64 s[56:57], -1
	s_waitcnt lgkmcnt(0)
	v_cmp_ne_u32_e32 vcc, -1, v16
	s_and_saveexec_b64 s[50:51], vcc
	s_cbranch_execz .LBB29_50
; %bb.60:                               ;   in Loop: Header=BB29_55 Depth=3
	v_cmp_ne_u32_e32 vcc, v16, v12
	s_mov_b64 s[54:55], -1
	s_mov_b64 s[56:57], 0
	s_and_saveexec_b64 s[52:53], vcc
	s_cbranch_execz .LBB29_49
; %bb.61:                               ;   in Loop: Header=BB29_55 Depth=3
	v_add_u32_e32 v14, 3, v15
	v_and_b32_e32 v14, 0x7f, v14
	v_lshl_add_u32 v15, v14, 2, v19
	ds_read_b32 v16, v15
	s_mov_b64 s[58:59], -1
	s_mov_b64 s[56:57], -1
                                        ; implicit-def: $vgpr15
	s_waitcnt lgkmcnt(0)
	v_cmp_ne_u32_e32 vcc, -1, v16
	s_and_saveexec_b64 s[54:55], vcc
	s_cbranch_execz .LBB29_48
; %bb.62:                               ;   in Loop: Header=BB29_55 Depth=3
	v_cmp_ne_u32_e32 vcc, v16, v12
	s_mov_b64 s[56:57], 0
                                        ; implicit-def: $vgpr15
	s_and_saveexec_b64 s[60:61], vcc
	s_cbranch_execz .LBB29_47
; %bb.63:                               ;   in Loop: Header=BB29_55 Depth=3
	v_add_u32_e32 v13, -4, v13
	v_cmp_eq_u32_e32 vcc, 0, v13
	s_mov_b64 s[56:57], exec
	v_add_u32_e32 v15, 1, v14
	s_orn2_b64 s[58:59], vcc, exec
	s_branch .LBB29_47
.LBB29_64:                              ;   in Loop: Header=BB29_46 Depth=2
	s_or_b64 exec, exec, s[36:37]
	s_xor_b64 s[30:31], s[30:31], -1
	s_and_saveexec_b64 s[36:37], s[30:31]
	s_xor_b64 s[30:31], exec, s[36:37]
	s_cbranch_execz .LBB29_45
; %bb.65:                               ;   in Loop: Header=BB29_46 Depth=2
	v_lshl_add_u32 v12, v14, 2, v0
	ds_read_b32 v12, v12
	v_lshlrev_b64 v[14:15], 3, v[8:9]
	v_add_co_u32_e32 v14, vcc, s12, v14
	s_waitcnt lgkmcnt(0)
	v_ashrrev_i32_e32 v13, 31, v12
	v_lshlrev_b64 v[12:13], 3, v[12:13]
	v_addc_co_u32_e32 v15, vcc, v22, v15, vcc
	v_add_co_u32_e32 v12, vcc, s12, v12
	v_addc_co_u32_e32 v13, vcc, v22, v13, vcc
	global_load_dwordx2 v[27:28], v[14:15], off
	global_load_dwordx2 v[29:30], v[12:13], off
	s_waitcnt vmcnt(0)
	v_fma_f32 v14, -v10, v27, v29
	v_fma_f32 v9, -v11, v27, v30
	v_fmac_f32_e32 v14, v11, v28
	v_fma_f32 v15, -v10, v28, v9
	global_store_dwordx2 v[12:13], v[14:15], off
	s_branch .LBB29_45
.LBB29_66:
	s_or_b64 exec, exec, s[6:7]
	v_cmp_lt_i32_e32 vcc, -1, v6
	s_and_saveexec_b64 s[6:7], vcc
	s_cbranch_execz .LBB29_88
; %bb.67:
	v_mov_b32_e32 v7, 0
	v_lshlrev_b64 v[8:9], 3, v[6:7]
	v_mov_b32_e32 v0, s13
	v_add_co_u32_e32 v10, vcc, s12, v8
	v_addc_co_u32_e32 v11, vcc, v0, v9, vcc
	global_load_dwordx2 v[8:9], v[10:11], off
	s_waitcnt vmcnt(0)
	v_cmp_gt_f32_e32 vcc, 0, v8
	v_cndmask_b32_e64 v0, v8, -v8, vcc
	v_cmp_gt_f32_e32 vcc, 0, v9
	v_cndmask_b32_e64 v6, v9, -v9, vcc
	v_cmp_ngt_f32_e32 vcc, v0, v6
	s_and_saveexec_b64 s[2:3], vcc
	s_xor_b64 s[8:9], exec, s[2:3]
	s_cbranch_execz .LBB29_71
; %bb.68:
	v_cmp_neq_f32_e32 vcc, 0, v9
	s_and_saveexec_b64 s[10:11], vcc
	s_cbranch_execz .LBB29_70
; %bb.69:
	v_div_scale_f32 v7, s[2:3], v6, v6, v0
	v_div_scale_f32 v12, vcc, v0, v6, v0
	s_mov_b32 s2, 0xf800000
	v_rcp_f32_e32 v13, v7
	v_fma_f32 v14, -v7, v13, 1.0
	v_fmac_f32_e32 v13, v14, v13
	v_mul_f32_e32 v14, v12, v13
	v_fma_f32 v15, -v7, v14, v12
	v_fmac_f32_e32 v14, v15, v13
	v_fma_f32 v7, -v7, v14, v12
	v_div_fmas_f32 v7, v7, v13, v14
	v_mov_b32_e32 v12, 0x260
	v_div_fixup_f32 v0, v7, v6, v0
	v_fma_f32 v0, v0, v0, 1.0
	v_mul_f32_e32 v7, 0x4f800000, v0
	v_cmp_gt_f32_e32 vcc, s2, v0
	v_cndmask_b32_e32 v0, v0, v7, vcc
	v_sqrt_f32_e32 v7, v0
	v_add_u32_e32 v13, -1, v7
	v_add_u32_e32 v14, 1, v7
	v_fma_f32 v15, -v13, v7, v0
	v_fma_f32 v16, -v14, v7, v0
	v_cmp_ge_f32_e64 s[2:3], 0, v15
	v_cndmask_b32_e64 v7, v7, v13, s[2:3]
	v_cmp_lt_f32_e64 s[2:3], 0, v16
	v_cndmask_b32_e64 v7, v7, v14, s[2:3]
	v_mul_f32_e32 v13, 0x37800000, v7
	v_cndmask_b32_e32 v7, v7, v13, vcc
	v_cmp_class_f32_e32 vcc, v0, v12
	v_cndmask_b32_e32 v0, v7, v0, vcc
	v_mul_f32_e32 v7, v6, v0
.LBB29_70:
	s_or_b64 exec, exec, s[10:11]
                                        ; implicit-def: $vgpr0
                                        ; implicit-def: $vgpr6
.LBB29_71:
	s_andn2_saveexec_b64 s[8:9], s[8:9]
	s_cbranch_execz .LBB29_73
; %bb.72:
	v_div_scale_f32 v7, s[2:3], v0, v0, v6
	v_div_scale_f32 v12, vcc, v6, v0, v6
	s_mov_b32 s2, 0xf800000
	v_rcp_f32_e32 v13, v7
	v_fma_f32 v14, -v7, v13, 1.0
	v_fmac_f32_e32 v13, v14, v13
	v_mul_f32_e32 v14, v12, v13
	v_fma_f32 v15, -v7, v14, v12
	v_fmac_f32_e32 v14, v15, v13
	v_fma_f32 v7, -v7, v14, v12
	v_div_fmas_f32 v7, v7, v13, v14
	v_mov_b32_e32 v12, 0x260
	v_div_fixup_f32 v6, v7, v0, v6
	v_fma_f32 v6, v6, v6, 1.0
	v_mul_f32_e32 v7, 0x4f800000, v6
	v_cmp_gt_f32_e32 vcc, s2, v6
	v_cndmask_b32_e32 v6, v6, v7, vcc
	v_sqrt_f32_e32 v7, v6
	v_add_u32_e32 v13, -1, v7
	v_add_u32_e32 v14, 1, v7
	v_fma_f32 v15, -v13, v7, v6
	v_fma_f32 v16, -v14, v7, v6
	v_cmp_ge_f32_e64 s[2:3], 0, v15
	v_cndmask_b32_e64 v7, v7, v13, s[2:3]
	v_cmp_lt_f32_e64 s[2:3], 0, v16
	v_cndmask_b32_e64 v7, v7, v14, s[2:3]
	v_mul_f32_e32 v13, 0x37800000, v7
	v_cndmask_b32_e32 v7, v7, v13, vcc
	v_cmp_class_f32_e32 vcc, v6, v12
	v_cndmask_b32_e32 v6, v7, v6, vcc
	v_mul_f32_e32 v7, v0, v6
.LBB29_73:
	s_or_b64 exec, exec, s[8:9]
	v_cvt_f64_f32_e32 v[6:7], v7
	v_cmp_eq_u32_e64 s[2:3], 0, v17
	s_and_b64 vcc, exec, s[0:1]
	s_mov_b64 s[0:1], -1
	s_cbranch_vccnz .LBB29_77
; %bb.74:
	v_cvt_f64_f32_e32 v[12:13], v18
	s_cmp_eq_u64 s[24:25], 8
	s_cselect_b64 vcc, -1, 0
	v_cndmask_b32_e32 v4, v13, v4, vcc
	v_cndmask_b32_e32 v3, v12, v3, vcc
	v_cmp_ge_f64_e32 vcc, v[3:4], v[6:7]
	s_and_b64 s[8:9], s[2:3], vcc
	s_and_saveexec_b64 s[0:1], s[8:9]
	s_cbranch_execz .LBB29_76
; %bb.75:
	v_mov_b32_e32 v3, s33
	v_mov_b32_e32 v4, s35
	global_store_dwordx2 v[10:11], v[3:4], off
	s_waitcnt vmcnt(0)
	buffer_wbinvl1_vol
.LBB29_76:
	s_or_b64 exec, exec, s[0:1]
	s_mov_b64 s[0:1], 0
.LBB29_77:
	s_andn2_b64 vcc, exec, s[0:1]
	s_cbranch_vccnz .LBB29_88
; %bb.78:
	s_load_dwordx2 s[0:1], s[4:5], 0x48
	v_add_u32_e32 v0, s34, v5
	s_waitcnt lgkmcnt(0)
	v_cmp_ge_f64_e32 vcc, s[0:1], v[6:7]
	s_and_b64 s[4:5], s[2:3], vcc
	s_and_saveexec_b64 s[0:1], s[4:5]
	s_cbranch_execz .LBB29_83
; %bb.79:
	s_mov_b64 s[4:5], exec
	s_brev_b32 s8, -2
.LBB29_80:                              ; =>This Inner Loop Header: Depth=1
	s_ff1_i32_b64 s9, s[4:5]
	v_readlane_b32 s12, v0, s9
	s_lshl_b64 s[10:11], 1, s9
	s_min_i32 s8, s8, s12
	s_andn2_b64 s[4:5], s[4:5], s[10:11]
	s_cmp_lg_u64 s[4:5], 0
	s_cbranch_scc1 .LBB29_80
; %bb.81:
	v_mbcnt_lo_u32_b32 v3, exec_lo, 0
	v_mbcnt_hi_u32_b32 v3, exec_hi, v3
	v_cmp_eq_u32_e32 vcc, 0, v3
	s_and_saveexec_b64 s[4:5], vcc
	s_xor_b64 s[4:5], exec, s[4:5]
	s_cbranch_execz .LBB29_83
; %bb.82:
	v_mov_b32_e32 v3, 0
	v_mov_b32_e32 v4, s8
	global_atomic_smin v3, v4, s[22:23]
.LBB29_83:
	s_or_b64 exec, exec, s[0:1]
	v_cmp_eq_f32_e32 vcc, 0, v8
	v_cmp_eq_f32_e64 s[0:1], 0, v9
	s_and_b64 s[0:1], vcc, s[0:1]
	s_and_b64 s[0:1], s[2:3], s[0:1]
	s_and_b64 exec, exec, s[0:1]
	s_cbranch_execz .LBB29_88
; %bb.84:
	s_mov_b64 s[0:1], exec
	s_brev_b32 s2, -2
.LBB29_85:                              ; =>This Inner Loop Header: Depth=1
	s_ff1_i32_b64 s3, s[0:1]
	v_readlane_b32 s8, v0, s3
	s_lshl_b64 s[4:5], 1, s3
	s_min_i32 s2, s2, s8
	s_andn2_b64 s[0:1], s[0:1], s[4:5]
	s_cmp_lg_u64 s[0:1], 0
	s_cbranch_scc1 .LBB29_85
; %bb.86:
	v_mbcnt_lo_u32_b32 v0, exec_lo, 0
	v_mbcnt_hi_u32_b32 v0, exec_hi, v0
	v_cmp_eq_u32_e32 vcc, 0, v0
	s_and_saveexec_b64 s[0:1], vcc
	s_xor_b64 s[0:1], exec, s[0:1]
	s_cbranch_execz .LBB29_88
; %bb.87:
	v_mov_b32_e32 v0, 0
	v_mov_b32_e32 v3, s2
	global_atomic_smin v0, v3, s[20:21]
.LBB29_88:
	s_or_b64 exec, exec, s[6:7]
	v_cmp_eq_u32_e32 vcc, 0, v17
	s_waitcnt vmcnt(0)
	buffer_wbinvl1_vol
	s_and_b64 exec, exec, vcc
	s_cbranch_execz .LBB29_90
; %bb.89:
	v_mov_b32_e32 v3, s17
	v_add_co_u32_e32 v0, vcc, s16, v1
	v_addc_co_u32_e32 v1, vcc, v3, v2, vcc
	v_mov_b32_e32 v2, 1
	global_store_dword v[0:1], v2, off
.LBB29_90:
	s_endpgm
	.section	.rodata,"a",@progbits
	.p2align	6, 0x0
	.amdhsa_kernel _ZN9rocsparseL12csrilu0_hashILj256ELj32ELj4E21rocsparse_complex_numIfEEEviPKiS4_PT2_S4_PiS4_S7_S7_d21rocsparse_index_base_imNS_24const_host_device_scalarIfEENS9_IdEENS9_IS5_EEb
		.amdhsa_group_segment_fixed_size 8192
		.amdhsa_private_segment_fixed_size 0
		.amdhsa_kernarg_size 124
		.amdhsa_user_sgpr_count 6
		.amdhsa_user_sgpr_private_segment_buffer 1
		.amdhsa_user_sgpr_dispatch_ptr 0
		.amdhsa_user_sgpr_queue_ptr 0
		.amdhsa_user_sgpr_kernarg_segment_ptr 1
		.amdhsa_user_sgpr_dispatch_id 0
		.amdhsa_user_sgpr_flat_scratch_init 0
		.amdhsa_user_sgpr_private_segment_size 0
		.amdhsa_uses_dynamic_stack 0
		.amdhsa_system_sgpr_private_segment_wavefront_offset 0
		.amdhsa_system_sgpr_workgroup_id_x 1
		.amdhsa_system_sgpr_workgroup_id_y 0
		.amdhsa_system_sgpr_workgroup_id_z 0
		.amdhsa_system_sgpr_workgroup_info 0
		.amdhsa_system_vgpr_workitem_id 0
		.amdhsa_next_free_vgpr 31
		.amdhsa_next_free_sgpr 62
		.amdhsa_reserve_vcc 1
		.amdhsa_reserve_flat_scratch 0
		.amdhsa_float_round_mode_32 0
		.amdhsa_float_round_mode_16_64 0
		.amdhsa_float_denorm_mode_32 3
		.amdhsa_float_denorm_mode_16_64 3
		.amdhsa_dx10_clamp 1
		.amdhsa_ieee_mode 1
		.amdhsa_fp16_overflow 0
		.amdhsa_exception_fp_ieee_invalid_op 0
		.amdhsa_exception_fp_denorm_src 0
		.amdhsa_exception_fp_ieee_div_zero 0
		.amdhsa_exception_fp_ieee_overflow 0
		.amdhsa_exception_fp_ieee_underflow 0
		.amdhsa_exception_fp_ieee_inexact 0
		.amdhsa_exception_int_div_zero 0
	.end_amdhsa_kernel
	.section	.text._ZN9rocsparseL12csrilu0_hashILj256ELj32ELj4E21rocsparse_complex_numIfEEEviPKiS4_PT2_S4_PiS4_S7_S7_d21rocsparse_index_base_imNS_24const_host_device_scalarIfEENS9_IdEENS9_IS5_EEb,"axG",@progbits,_ZN9rocsparseL12csrilu0_hashILj256ELj32ELj4E21rocsparse_complex_numIfEEEviPKiS4_PT2_S4_PiS4_S7_S7_d21rocsparse_index_base_imNS_24const_host_device_scalarIfEENS9_IdEENS9_IS5_EEb,comdat
.Lfunc_end29:
	.size	_ZN9rocsparseL12csrilu0_hashILj256ELj32ELj4E21rocsparse_complex_numIfEEEviPKiS4_PT2_S4_PiS4_S7_S7_d21rocsparse_index_base_imNS_24const_host_device_scalarIfEENS9_IdEENS9_IS5_EEb, .Lfunc_end29-_ZN9rocsparseL12csrilu0_hashILj256ELj32ELj4E21rocsparse_complex_numIfEEEviPKiS4_PT2_S4_PiS4_S7_S7_d21rocsparse_index_base_imNS_24const_host_device_scalarIfEENS9_IdEENS9_IS5_EEb
                                        ; -- End function
	.set _ZN9rocsparseL12csrilu0_hashILj256ELj32ELj4E21rocsparse_complex_numIfEEEviPKiS4_PT2_S4_PiS4_S7_S7_d21rocsparse_index_base_imNS_24const_host_device_scalarIfEENS9_IdEENS9_IS5_EEb.num_vgpr, 31
	.set _ZN9rocsparseL12csrilu0_hashILj256ELj32ELj4E21rocsparse_complex_numIfEEEviPKiS4_PT2_S4_PiS4_S7_S7_d21rocsparse_index_base_imNS_24const_host_device_scalarIfEENS9_IdEENS9_IS5_EEb.num_agpr, 0
	.set _ZN9rocsparseL12csrilu0_hashILj256ELj32ELj4E21rocsparse_complex_numIfEEEviPKiS4_PT2_S4_PiS4_S7_S7_d21rocsparse_index_base_imNS_24const_host_device_scalarIfEENS9_IdEENS9_IS5_EEb.numbered_sgpr, 62
	.set _ZN9rocsparseL12csrilu0_hashILj256ELj32ELj4E21rocsparse_complex_numIfEEEviPKiS4_PT2_S4_PiS4_S7_S7_d21rocsparse_index_base_imNS_24const_host_device_scalarIfEENS9_IdEENS9_IS5_EEb.num_named_barrier, 0
	.set _ZN9rocsparseL12csrilu0_hashILj256ELj32ELj4E21rocsparse_complex_numIfEEEviPKiS4_PT2_S4_PiS4_S7_S7_d21rocsparse_index_base_imNS_24const_host_device_scalarIfEENS9_IdEENS9_IS5_EEb.private_seg_size, 0
	.set _ZN9rocsparseL12csrilu0_hashILj256ELj32ELj4E21rocsparse_complex_numIfEEEviPKiS4_PT2_S4_PiS4_S7_S7_d21rocsparse_index_base_imNS_24const_host_device_scalarIfEENS9_IdEENS9_IS5_EEb.uses_vcc, 1
	.set _ZN9rocsparseL12csrilu0_hashILj256ELj32ELj4E21rocsparse_complex_numIfEEEviPKiS4_PT2_S4_PiS4_S7_S7_d21rocsparse_index_base_imNS_24const_host_device_scalarIfEENS9_IdEENS9_IS5_EEb.uses_flat_scratch, 0
	.set _ZN9rocsparseL12csrilu0_hashILj256ELj32ELj4E21rocsparse_complex_numIfEEEviPKiS4_PT2_S4_PiS4_S7_S7_d21rocsparse_index_base_imNS_24const_host_device_scalarIfEENS9_IdEENS9_IS5_EEb.has_dyn_sized_stack, 0
	.set _ZN9rocsparseL12csrilu0_hashILj256ELj32ELj4E21rocsparse_complex_numIfEEEviPKiS4_PT2_S4_PiS4_S7_S7_d21rocsparse_index_base_imNS_24const_host_device_scalarIfEENS9_IdEENS9_IS5_EEb.has_recursion, 0
	.set _ZN9rocsparseL12csrilu0_hashILj256ELj32ELj4E21rocsparse_complex_numIfEEEviPKiS4_PT2_S4_PiS4_S7_S7_d21rocsparse_index_base_imNS_24const_host_device_scalarIfEENS9_IdEENS9_IS5_EEb.has_indirect_call, 0
	.section	.AMDGPU.csdata,"",@progbits
; Kernel info:
; codeLenInByte = 3164
; TotalNumSgprs: 66
; NumVgprs: 31
; ScratchSize: 0
; MemoryBound: 0
; FloatMode: 240
; IeeeMode: 1
; LDSByteSize: 8192 bytes/workgroup (compile time only)
; SGPRBlocks: 8
; VGPRBlocks: 7
; NumSGPRsForWavesPerEU: 66
; NumVGPRsForWavesPerEU: 31
; Occupancy: 8
; WaveLimiterHint : 1
; COMPUTE_PGM_RSRC2:SCRATCH_EN: 0
; COMPUTE_PGM_RSRC2:USER_SGPR: 6
; COMPUTE_PGM_RSRC2:TRAP_HANDLER: 0
; COMPUTE_PGM_RSRC2:TGID_X_EN: 1
; COMPUTE_PGM_RSRC2:TGID_Y_EN: 0
; COMPUTE_PGM_RSRC2:TGID_Z_EN: 0
; COMPUTE_PGM_RSRC2:TIDIG_COMP_CNT: 0
	.section	.text._ZN9rocsparseL12csrilu0_hashILj256ELj32ELj8E21rocsparse_complex_numIfEEEviPKiS4_PT2_S4_PiS4_S7_S7_d21rocsparse_index_base_imNS_24const_host_device_scalarIfEENS9_IdEENS9_IS5_EEb,"axG",@progbits,_ZN9rocsparseL12csrilu0_hashILj256ELj32ELj8E21rocsparse_complex_numIfEEEviPKiS4_PT2_S4_PiS4_S7_S7_d21rocsparse_index_base_imNS_24const_host_device_scalarIfEENS9_IdEENS9_IS5_EEb,comdat
	.globl	_ZN9rocsparseL12csrilu0_hashILj256ELj32ELj8E21rocsparse_complex_numIfEEEviPKiS4_PT2_S4_PiS4_S7_S7_d21rocsparse_index_base_imNS_24const_host_device_scalarIfEENS9_IdEENS9_IS5_EEb ; -- Begin function _ZN9rocsparseL12csrilu0_hashILj256ELj32ELj8E21rocsparse_complex_numIfEEEviPKiS4_PT2_S4_PiS4_S7_S7_d21rocsparse_index_base_imNS_24const_host_device_scalarIfEENS9_IdEENS9_IS5_EEb
	.p2align	8
	.type	_ZN9rocsparseL12csrilu0_hashILj256ELj32ELj8E21rocsparse_complex_numIfEEEviPKiS4_PT2_S4_PiS4_S7_S7_d21rocsparse_index_base_imNS_24const_host_device_scalarIfEENS9_IdEENS9_IS5_EEb,@function
_ZN9rocsparseL12csrilu0_hashILj256ELj32ELj8E21rocsparse_complex_numIfEEEviPKiS4_PT2_S4_PiS4_S7_S7_d21rocsparse_index_base_imNS_24const_host_device_scalarIfEENS9_IdEENS9_IS5_EEb: ; @_ZN9rocsparseL12csrilu0_hashILj256ELj32ELj8E21rocsparse_complex_numIfEEEviPKiS4_PT2_S4_PiS4_S7_S7_d21rocsparse_index_base_imNS_24const_host_device_scalarIfEENS9_IdEENS9_IS5_EEb
; %bb.0:
	s_load_dword s0, s[4:5], 0x78
	s_load_dwordx2 s[34:35], s[4:5], 0x50
	s_load_dwordx8 s[24:31], s[4:5], 0x58
	s_waitcnt lgkmcnt(0)
	s_bitcmp1_b32 s0, 0
	s_cselect_b64 s[2:3], -1, 0
	s_cmp_eq_u32 s35, 0
	s_cselect_b64 s[12:13], -1, 0
	s_cmp_lg_u32 s35, 0
	s_cselect_b64 s[8:9], -1, 0
	s_or_b64 s[14:15], s[12:13], s[2:3]
	s_xor_b64 s[0:1], s[14:15], -1
	s_and_b64 s[10:11], s[12:13], exec
	s_cselect_b32 s11, 0, s29
	s_cselect_b32 s10, 0, s28
	s_and_b64 vcc, exec, s[14:15]
	s_cbranch_vccnz .LBB30_2
; %bb.1:
	s_load_dword s7, s[26:27], 0x0
	s_mov_b64 s[10:11], s[28:29]
	s_waitcnt lgkmcnt(0)
	v_mov_b32_e32 v18, s7
	v_mov_b32_e32 v3, s10
	s_andn2_b64 vcc, exec, s[0:1]
	v_mov_b32_e32 v4, s11
	s_cbranch_vccz .LBB30_3
	s_branch .LBB30_4
.LBB30_2:
	v_mov_b32_e32 v1, s26
	v_cndmask_b32_e64 v18, v1, 0, s[12:13]
	v_mov_b32_e32 v3, s10
	s_andn2_b64 vcc, exec, s[0:1]
	v_mov_b32_e32 v4, s11
	s_cbranch_vccnz .LBB30_4
.LBB30_3:
	v_mov_b32_e32 v1, s28
	v_mov_b32_e32 v2, s29
	flat_load_dwordx2 v[3:4], v[1:2]
.LBB30_4:
	v_cndmask_b32_e64 v1, 0, 1, s[8:9]
	s_mov_b32 s33, 0
	v_cmp_ne_u32_e64 s[0:1], 1, v1
	s_andn2_b64 vcc, exec, s[8:9]
	s_mov_b32 s35, 0
	s_cbranch_vccnz .LBB30_10
; %bb.5:
	s_xor_b64 s[8:9], s[2:3], -1
	v_cndmask_b32_e64 v1, 0, 1, s[8:9]
	v_cmp_ne_u32_e64 s[2:3], 1, v1
	s_andn2_b64 vcc, exec, s[8:9]
	s_mov_b32 s33, s30
	s_cbranch_vccnz .LBB30_7
; %bb.6:
	s_load_dword s33, s[30:31], 0x0
.LBB30_7:
	s_and_b64 vcc, exec, s[2:3]
	s_cbranch_vccnz .LBB30_9
; %bb.8:
	s_load_dword s31, s[30:31], 0x4
.LBB30_9:
	s_waitcnt lgkmcnt(0)
	s_mov_b32 s35, s31
.LBB30_10:
	v_and_b32_e32 v17, 31, v0
	v_lshrrev_b32_e32 v1, 5, v0
	v_lshlrev_b32_e32 v5, 10, v1
	v_lshlrev_b32_e32 v6, 2, v17
	s_movk_i32 s2, 0x2000
	v_or_b32_e32 v2, 0xffffffe0, v17
	v_or3_b32 v5, v5, v6, s2
	s_mov_b64 s[2:3], 0
	v_mov_b32_e32 v6, -1
	s_movk_i32 s7, 0xdf
.LBB30_11:                              ; =>This Inner Loop Header: Depth=1
	v_add_u32_e32 v2, 32, v2
	v_cmp_lt_u32_e32 vcc, s7, v2
	ds_write_b32 v5, v6
	s_or_b64 s[2:3], vcc, s[2:3]
	v_add_u32_e32 v5, 0x80, v5
	s_andn2_b64 exec, exec, s[2:3]
	s_cbranch_execnz .LBB30_11
; %bb.12:
	s_or_b64 exec, exec, s[2:3]
	s_load_dword s2, s[4:5], 0x0
	s_lshl_b32 s3, s6, 3
	s_and_b32 s3, s3, 0x7fffff8
	v_or_b32_e32 v1, s3, v1
	s_waitcnt lgkmcnt(0)
	v_cmp_gt_i32_e32 vcc, s2, v1
	s_and_saveexec_b64 s[2:3], vcc
	s_cbranch_execz .LBB30_90
; %bb.13:
	s_load_dwordx16 s[8:23], s[4:5], 0x8
	v_lshlrev_b32_e32 v1, 2, v1
	v_lshlrev_b32_e32 v0, 5, v0
	v_and_b32_e32 v0, 0x1c00, v0
	v_or_b32_e32 v19, 0x2000, v0
	s_waitcnt lgkmcnt(0)
	global_load_dword v5, v1, s[18:19]
	v_mov_b32_e32 v7, s9
	v_mov_b32_e32 v10, s15
	s_waitcnt vmcnt(0)
	v_ashrrev_i32_e32 v6, 31, v5
	v_lshlrev_b64 v[1:2], 2, v[5:6]
	v_add_co_u32_e32 v6, vcc, s8, v1
	v_addc_co_u32_e32 v7, vcc, v7, v2, vcc
	global_load_dwordx2 v[7:8], v[6:7], off
	v_add_co_u32_e32 v9, vcc, s14, v1
	v_addc_co_u32_e32 v10, vcc, v10, v2, vcc
	global_load_dword v6, v[9:10], off
	s_waitcnt vmcnt(1)
	v_subrev_u32_e32 v7, s34, v7
	v_subrev_u32_e32 v10, s34, v8
	v_add_u32_e32 v8, v7, v17
	v_cmp_lt_i32_e32 vcc, v8, v10
	s_and_saveexec_b64 s[2:3], vcc
	s_cbranch_execz .LBB30_36
; %bb.14:
	s_mov_b64 s[6:7], 0
	v_mov_b32_e32 v11, s11
	s_movk_i32 s56, 0x67
	v_mov_b32_e32 v12, -1
	s_branch .LBB30_16
.LBB30_15:                              ;   in Loop: Header=BB30_16 Depth=1
	s_or_b64 exec, exec, s[18:19]
	v_add_u32_e32 v8, 32, v8
	v_cmp_ge_i32_e32 vcc, v8, v10
	s_or_b64 s[6:7], vcc, s[6:7]
	s_andn2_b64 exec, exec, s[6:7]
	s_cbranch_execz .LBB30_36
.LBB30_16:                              ; =>This Loop Header: Depth=1
                                        ;     Child Loop BB30_25 Depth 2
	v_ashrrev_i32_e32 v9, 31, v8
	v_lshlrev_b64 v[13:14], 2, v[8:9]
	s_mov_b64 s[26:27], 0
	v_add_co_u32_e32 v13, vcc, s10, v13
	v_addc_co_u32_e32 v14, vcc, v11, v14, vcc
	global_load_dword v9, v[13:14], off
	v_mov_b32_e32 v13, 0x100
                                        ; implicit-def: $sgpr18_sgpr19
                                        ; implicit-def: $sgpr28_sgpr29
                                        ; implicit-def: $sgpr30_sgpr31
	s_waitcnt vmcnt(0)
	v_mul_lo_u32 v15, v9, s56
	s_branch .LBB30_25
.LBB30_17:                              ;   in Loop: Header=BB30_25 Depth=2
	s_or_b64 exec, exec, s[54:55]
	s_orn2_b64 s[50:51], s[50:51], exec
	s_orn2_b64 s[52:53], s[52:53], exec
.LBB30_18:                              ;   in Loop: Header=BB30_25 Depth=2
	s_or_b64 exec, exec, s[48:49]
	s_and_b64 s[50:51], s[50:51], exec
	s_orn2_b64 s[48:49], s[52:53], exec
.LBB30_19:                              ;   in Loop: Header=BB30_25 Depth=2
	s_or_b64 exec, exec, s[46:47]
	s_orn2_b64 s[50:51], s[50:51], exec
	s_orn2_b64 s[46:47], s[48:49], exec
.LBB30_20:                              ;   in Loop: Header=BB30_25 Depth=2
	s_or_b64 exec, exec, s[44:45]
	s_and_b64 s[48:49], s[50:51], exec
	s_orn2_b64 s[44:45], s[46:47], exec
.LBB30_21:                              ;   in Loop: Header=BB30_25 Depth=2
	s_or_b64 exec, exec, s[42:43]
	s_orn2_b64 s[42:43], s[48:49], exec
	s_orn2_b64 s[44:45], s[44:45], exec
.LBB30_22:                              ;   in Loop: Header=BB30_25 Depth=2
	s_or_b64 exec, exec, s[40:41]
	s_and_b64 s[42:43], s[42:43], exec
	s_orn2_b64 s[40:41], s[44:45], exec
.LBB30_23:                              ;   in Loop: Header=BB30_25 Depth=2
	s_or_b64 exec, exec, s[38:39]
	s_andn2_b64 s[30:31], s[30:31], exec
	s_and_b64 s[38:39], s[42:43], exec
	s_or_b64 s[30:31], s[30:31], s[38:39]
	s_andn2_b64 s[28:29], s[28:29], exec
	s_and_b64 s[38:39], s[40:41], exec
	s_or_b64 s[28:29], s[28:29], s[38:39]
.LBB30_24:                              ;   in Loop: Header=BB30_25 Depth=2
	s_or_b64 exec, exec, s[36:37]
	s_and_b64 s[36:37], exec, s[28:29]
	s_or_b64 s[26:27], s[36:37], s[26:27]
	s_andn2_b64 s[18:19], s[18:19], exec
	s_and_b64 s[36:37], s[30:31], exec
	s_or_b64 s[18:19], s[18:19], s[36:37]
	s_andn2_b64 exec, exec, s[26:27]
	s_cbranch_execz .LBB30_34
.LBB30_25:                              ;   Parent Loop BB30_16 Depth=1
                                        ; =>  This Inner Loop Header: Depth=2
	v_and_b32_e32 v14, 0xff, v15
	v_lshl_add_u32 v16, v14, 2, v19
	ds_read_b32 v20, v16
	s_or_b64 s[30:31], s[30:31], exec
	s_or_b64 s[28:29], s[28:29], exec
	s_waitcnt lgkmcnt(0)
	v_cmp_ne_u32_e32 vcc, v20, v9
	s_and_saveexec_b64 s[36:37], vcc
	s_cbranch_execz .LBB30_24
; %bb.26:                               ;   in Loop: Header=BB30_25 Depth=2
	ds_cmpst_rtn_b32 v16, v16, v12, v9
	s_mov_b64 s[40:41], -1
	s_mov_b64 s[42:43], 0
	s_waitcnt lgkmcnt(0)
	v_cmp_ne_u32_e32 vcc, -1, v16
	s_and_saveexec_b64 s[38:39], vcc
	s_cbranch_execz .LBB30_23
; %bb.27:                               ;   in Loop: Header=BB30_25 Depth=2
	v_add_u32_e32 v14, 1, v15
	v_and_b32_e32 v14, 0xff, v14
	v_lshl_add_u32 v16, v14, 2, v19
	ds_read_b32 v20, v16
	s_mov_b64 s[44:45], -1
	s_mov_b64 s[42:43], -1
	s_waitcnt lgkmcnt(0)
	v_cmp_ne_u32_e32 vcc, v20, v9
	s_and_saveexec_b64 s[40:41], vcc
	s_cbranch_execz .LBB30_22
; %bb.28:                               ;   in Loop: Header=BB30_25 Depth=2
	ds_cmpst_rtn_b32 v16, v16, v12, v9
	s_mov_b64 s[48:49], 0
	s_waitcnt lgkmcnt(0)
	v_cmp_ne_u32_e32 vcc, -1, v16
	s_and_saveexec_b64 s[42:43], vcc
	s_cbranch_execz .LBB30_21
; %bb.29:                               ;   in Loop: Header=BB30_25 Depth=2
	v_add_u32_e32 v14, 2, v15
	v_and_b32_e32 v14, 0xff, v14
	v_lshl_add_u32 v16, v14, 2, v19
	ds_read_b32 v20, v16
	s_mov_b64 s[46:47], -1
	s_mov_b64 s[50:51], -1
	s_waitcnt lgkmcnt(0)
	v_cmp_ne_u32_e32 vcc, v20, v9
	s_and_saveexec_b64 s[44:45], vcc
	s_cbranch_execz .LBB30_20
; %bb.30:                               ;   in Loop: Header=BB30_25 Depth=2
	ds_cmpst_rtn_b32 v16, v16, v12, v9
	s_mov_b64 s[48:49], -1
	s_mov_b64 s[50:51], 0
	s_waitcnt lgkmcnt(0)
	v_cmp_ne_u32_e32 vcc, -1, v16
	s_and_saveexec_b64 s[46:47], vcc
	s_cbranch_execz .LBB30_19
; %bb.31:                               ;   in Loop: Header=BB30_25 Depth=2
	v_add_u32_e32 v14, 3, v15
	v_and_b32_e32 v14, 0xff, v14
	v_lshl_add_u32 v16, v14, 2, v19
	ds_read_b32 v15, v16
	s_mov_b64 s[52:53], -1
	s_mov_b64 s[50:51], -1
	s_waitcnt lgkmcnt(0)
	v_cmp_ne_u32_e32 vcc, v15, v9
                                        ; implicit-def: $vgpr15
	s_and_saveexec_b64 s[48:49], vcc
	s_cbranch_execz .LBB30_18
; %bb.32:                               ;   in Loop: Header=BB30_25 Depth=2
	ds_cmpst_rtn_b32 v15, v16, v12, v9
	s_mov_b64 s[50:51], 0
	s_waitcnt lgkmcnt(0)
	v_cmp_ne_u32_e32 vcc, -1, v15
                                        ; implicit-def: $vgpr15
	s_and_saveexec_b64 s[54:55], vcc
	s_cbranch_execz .LBB30_17
; %bb.33:                               ;   in Loop: Header=BB30_25 Depth=2
	v_add_u32_e32 v13, -4, v13
	v_cmp_eq_u32_e32 vcc, 0, v13
	s_mov_b64 s[50:51], exec
	v_add_u32_e32 v15, 1, v14
	s_orn2_b64 s[52:53], vcc, exec
	s_branch .LBB30_17
.LBB30_34:                              ;   in Loop: Header=BB30_16 Depth=1
	s_or_b64 exec, exec, s[26:27]
	s_xor_b64 s[18:19], s[18:19], -1
	s_and_saveexec_b64 s[26:27], s[18:19]
	s_xor_b64 s[18:19], exec, s[26:27]
	s_cbranch_execz .LBB30_15
; %bb.35:                               ;   in Loop: Header=BB30_16 Depth=1
	v_lshl_add_u32 v9, v14, 2, v0
	ds_write_b32 v9, v8
	s_branch .LBB30_15
.LBB30_36:
	s_or_b64 exec, exec, s[2:3]
	s_waitcnt vmcnt(0)
	v_cmp_lt_i32_e32 vcc, v7, v6
	s_waitcnt lgkmcnt(0)
	s_and_saveexec_b64 s[6:7], vcc
	s_cbranch_execz .LBB30_66
; %bb.37:
	v_add_u32_e32 v20, 1, v17
	s_mov_b64 s[18:19], 0
	v_mov_b32_e32 v21, s11
	v_mov_b32_e32 v22, s13
	;; [unrolled: 1-line block ×5, first 2 shown]
	s_movk_i32 s9, 0x67
	s_branch .LBB30_40
.LBB30_38:                              ;   in Loop: Header=BB30_40 Depth=1
	s_or_b64 exec, exec, s[26:27]
	v_add_u32_e32 v7, 1, v7
	v_cmp_ge_i32_e32 vcc, v7, v6
	s_orn2_b64 s[26:27], vcc, exec
.LBB30_39:                              ;   in Loop: Header=BB30_40 Depth=1
	s_or_b64 exec, exec, s[2:3]
	s_and_b64 s[2:3], exec, s[26:27]
	s_or_b64 s[18:19], s[2:3], s[18:19]
	s_andn2_b64 exec, exec, s[18:19]
	s_cbranch_execz .LBB30_66
.LBB30_40:                              ; =>This Loop Header: Depth=1
                                        ;     Child Loop BB30_41 Depth 2
                                        ;     Child Loop BB30_46 Depth 2
                                        ;       Child Loop BB30_55 Depth 3
	v_ashrrev_i32_e32 v8, 31, v7
	v_lshlrev_b64 v[9:10], 2, v[7:8]
	s_mov_b64 s[2:3], 0
	v_add_co_u32_e32 v9, vcc, s10, v9
	v_addc_co_u32_e32 v10, vcc, v21, v10, vcc
	global_load_dword v11, v[9:10], off
	v_lshlrev_b64 v[8:9], 3, v[7:8]
	v_add_co_u32_e32 v12, vcc, s12, v8
	v_addc_co_u32_e32 v13, vcc, v22, v9, vcc
	global_load_dwordx2 v[9:10], v[12:13], off
	s_waitcnt vmcnt(1)
	v_subrev_u32_e32 v14, s34, v11
	v_ashrrev_i32_e32 v15, 31, v14
	v_lshlrev_b64 v[14:15], 2, v[14:15]
	v_add_co_u32_e32 v26, vcc, s8, v14
	v_addc_co_u32_e32 v27, vcc, v23, v15, vcc
	v_add_co_u32_e32 v28, vcc, s14, v14
	v_addc_co_u32_e32 v29, vcc, v24, v15, vcc
	global_load_dword v8, v[26:27], off offset:4
	global_load_dword v11, v[28:29], off
	v_add_co_u32_e32 v14, vcc, s16, v14
	v_addc_co_u32_e32 v15, vcc, v25, v15, vcc
.LBB30_41:                              ;   Parent Loop BB30_40 Depth=1
                                        ; =>  This Inner Loop Header: Depth=2
	global_load_dword v16, v[14:15], off glc
	s_waitcnt vmcnt(0)
	v_cmp_ne_u32_e32 vcc, 0, v16
	s_or_b64 s[2:3], vcc, s[2:3]
	s_andn2_b64 exec, exec, s[2:3]
	s_cbranch_execnz .LBB30_41
; %bb.42:                               ;   in Loop: Header=BB30_40 Depth=1
	s_or_b64 exec, exec, s[2:3]
	v_subrev_u32_e32 v26, s34, v8
	v_add_u32_e32 v8, -1, v26
	v_cmp_eq_u32_e32 vcc, -1, v11
	v_cndmask_b32_e32 v14, v11, v8, vcc
	v_ashrrev_i32_e32 v15, 31, v14
	v_lshlrev_b64 v[15:16], 3, v[14:15]
	buffer_wbinvl1_vol
	v_add_co_u32_e32 v15, vcc, s12, v15
	v_addc_co_u32_e32 v16, vcc, v22, v16, vcc
	global_load_dwordx2 v[15:16], v[15:16], off
	s_mov_b64 s[26:27], -1
	s_waitcnt vmcnt(0)
	v_cmp_neq_f32_e32 vcc, 0, v15
	v_cmp_neq_f32_e64 s[2:3], 0, v16
	s_or_b64 s[28:29], vcc, s[2:3]
	s_and_saveexec_b64 s[2:3], s[28:29]
	s_cbranch_execz .LBB30_39
; %bb.43:                               ;   in Loop: Header=BB30_40 Depth=1
	v_mul_f32_e32 v11, v16, v16
	v_fmac_f32_e32 v11, v15, v15
	v_div_scale_f32 v8, s[26:27], v11, v11, 1.0
	v_div_scale_f32 v27, vcc, 1.0, v11, 1.0
	v_rcp_f32_e32 v28, v8
	v_fma_f32 v29, -v8, v28, 1.0
	v_fmac_f32_e32 v28, v29, v28
	v_mul_f32_e32 v29, v27, v28
	v_fma_f32 v30, -v8, v29, v27
	v_fmac_f32_e32 v29, v30, v28
	v_fma_f32 v8, -v8, v29, v27
	v_div_fmas_f32 v27, v8, v28, v29
	v_mul_f32_e32 v28, v10, v16
	v_mul_f32_e64 v16, v16, -v9
	v_add_u32_e32 v8, v20, v14
	v_fmac_f32_e32 v28, v9, v15
	v_fmac_f32_e32 v16, v10, v15
	v_cmp_lt_i32_e32 vcc, v8, v26
	v_div_fixup_f32 v9, v27, v11, 1.0
	v_mul_f32_e32 v10, v28, v9
	v_mul_f32_e32 v11, v16, v9
	global_store_dwordx2 v[12:13], v[10:11], off
	s_and_saveexec_b64 s[26:27], vcc
	s_cbranch_execz .LBB30_38
; %bb.44:                               ;   in Loop: Header=BB30_40 Depth=1
	s_mov_b64 s[28:29], 0
	s_branch .LBB30_46
.LBB30_45:                              ;   in Loop: Header=BB30_46 Depth=2
	s_or_b64 exec, exec, s[30:31]
	v_add_u32_e32 v8, 32, v8
	v_cmp_ge_i32_e32 vcc, v8, v26
	s_or_b64 s[28:29], vcc, s[28:29]
	s_andn2_b64 exec, exec, s[28:29]
	s_cbranch_execz .LBB30_38
.LBB30_46:                              ;   Parent Loop BB30_40 Depth=1
                                        ; =>  This Loop Header: Depth=2
                                        ;       Child Loop BB30_55 Depth 3
	v_ashrrev_i32_e32 v9, 31, v8
	v_lshlrev_b64 v[12:13], 2, v[8:9]
	s_mov_b64 s[36:37], 0
	v_add_co_u32_e32 v12, vcc, s10, v12
	v_addc_co_u32_e32 v13, vcc, v21, v13, vcc
	global_load_dword v12, v[12:13], off
	v_mov_b32_e32 v13, 0x100
                                        ; implicit-def: $sgpr30_sgpr31
                                        ; implicit-def: $sgpr38_sgpr39
                                        ; implicit-def: $sgpr40_sgpr41
	s_waitcnt vmcnt(0)
	v_mul_lo_u32 v15, v12, s9
	s_branch .LBB30_55
.LBB30_47:                              ;   in Loop: Header=BB30_55 Depth=3
	s_or_b64 exec, exec, s[60:61]
	s_orn2_b64 s[56:57], s[56:57], exec
	s_orn2_b64 s[58:59], s[58:59], exec
.LBB30_48:                              ;   in Loop: Header=BB30_55 Depth=3
	s_or_b64 exec, exec, s[54:55]
	s_and_b64 s[56:57], s[56:57], exec
	s_orn2_b64 s[54:55], s[58:59], exec
.LBB30_49:                              ;   in Loop: Header=BB30_55 Depth=3
	s_or_b64 exec, exec, s[52:53]
	s_orn2_b64 s[56:57], s[56:57], exec
	s_orn2_b64 s[52:53], s[54:55], exec
.LBB30_50:                              ;   in Loop: Header=BB30_55 Depth=3
	s_or_b64 exec, exec, s[50:51]
	s_and_b64 s[54:55], s[56:57], exec
	s_orn2_b64 s[50:51], s[52:53], exec
.LBB30_51:                              ;   in Loop: Header=BB30_55 Depth=3
	s_or_b64 exec, exec, s[48:49]
	s_orn2_b64 s[48:49], s[54:55], exec
	s_orn2_b64 s[50:51], s[50:51], exec
.LBB30_52:                              ;   in Loop: Header=BB30_55 Depth=3
	s_or_b64 exec, exec, s[46:47]
	s_and_b64 s[48:49], s[48:49], exec
	s_orn2_b64 s[46:47], s[50:51], exec
.LBB30_53:                              ;   in Loop: Header=BB30_55 Depth=3
	s_or_b64 exec, exec, s[44:45]
	s_andn2_b64 s[40:41], s[40:41], exec
	s_and_b64 s[44:45], s[48:49], exec
	s_or_b64 s[40:41], s[40:41], s[44:45]
	s_andn2_b64 s[38:39], s[38:39], exec
	s_and_b64 s[44:45], s[46:47], exec
	s_or_b64 s[38:39], s[38:39], s[44:45]
.LBB30_54:                              ;   in Loop: Header=BB30_55 Depth=3
	s_or_b64 exec, exec, s[42:43]
	s_and_b64 s[42:43], exec, s[38:39]
	s_or_b64 s[36:37], s[42:43], s[36:37]
	s_andn2_b64 s[30:31], s[30:31], exec
	s_and_b64 s[42:43], s[40:41], exec
	s_or_b64 s[30:31], s[30:31], s[42:43]
	s_andn2_b64 exec, exec, s[36:37]
	s_cbranch_execz .LBB30_64
.LBB30_55:                              ;   Parent Loop BB30_40 Depth=1
                                        ;     Parent Loop BB30_46 Depth=2
                                        ; =>    This Inner Loop Header: Depth=3
	v_and_b32_e32 v14, 0xff, v15
	v_lshl_add_u32 v16, v14, 2, v19
	ds_read_b32 v16, v16
	s_or_b64 s[40:41], s[40:41], exec
	s_or_b64 s[38:39], s[38:39], exec
	s_waitcnt lgkmcnt(0)
	v_cmp_ne_u32_e32 vcc, -1, v16
	s_and_saveexec_b64 s[42:43], vcc
	s_cbranch_execz .LBB30_54
; %bb.56:                               ;   in Loop: Header=BB30_55 Depth=3
	v_cmp_ne_u32_e32 vcc, v16, v12
	s_mov_b64 s[46:47], -1
	s_mov_b64 s[48:49], 0
	s_and_saveexec_b64 s[44:45], vcc
	s_cbranch_execz .LBB30_53
; %bb.57:                               ;   in Loop: Header=BB30_55 Depth=3
	v_add_u32_e32 v14, 1, v15
	v_and_b32_e32 v14, 0xff, v14
	v_lshl_add_u32 v16, v14, 2, v19
	ds_read_b32 v16, v16
	s_mov_b64 s[50:51], -1
	s_mov_b64 s[48:49], -1
	s_waitcnt lgkmcnt(0)
	v_cmp_ne_u32_e32 vcc, -1, v16
	s_and_saveexec_b64 s[46:47], vcc
	s_cbranch_execz .LBB30_52
; %bb.58:                               ;   in Loop: Header=BB30_55 Depth=3
	v_cmp_ne_u32_e32 vcc, v16, v12
	s_mov_b64 s[54:55], 0
	s_and_saveexec_b64 s[48:49], vcc
	s_cbranch_execz .LBB30_51
; %bb.59:                               ;   in Loop: Header=BB30_55 Depth=3
	v_add_u32_e32 v14, 2, v15
	v_and_b32_e32 v14, 0xff, v14
	v_lshl_add_u32 v16, v14, 2, v19
	ds_read_b32 v16, v16
	s_mov_b64 s[52:53], -1
	s_mov_b64 s[56:57], -1
	s_waitcnt lgkmcnt(0)
	v_cmp_ne_u32_e32 vcc, -1, v16
	s_and_saveexec_b64 s[50:51], vcc
	s_cbranch_execz .LBB30_50
; %bb.60:                               ;   in Loop: Header=BB30_55 Depth=3
	v_cmp_ne_u32_e32 vcc, v16, v12
	s_mov_b64 s[54:55], -1
	s_mov_b64 s[56:57], 0
	s_and_saveexec_b64 s[52:53], vcc
	s_cbranch_execz .LBB30_49
; %bb.61:                               ;   in Loop: Header=BB30_55 Depth=3
	v_add_u32_e32 v14, 3, v15
	v_and_b32_e32 v14, 0xff, v14
	v_lshl_add_u32 v15, v14, 2, v19
	ds_read_b32 v16, v15
	s_mov_b64 s[58:59], -1
	s_mov_b64 s[56:57], -1
                                        ; implicit-def: $vgpr15
	s_waitcnt lgkmcnt(0)
	v_cmp_ne_u32_e32 vcc, -1, v16
	s_and_saveexec_b64 s[54:55], vcc
	s_cbranch_execz .LBB30_48
; %bb.62:                               ;   in Loop: Header=BB30_55 Depth=3
	v_cmp_ne_u32_e32 vcc, v16, v12
	s_mov_b64 s[56:57], 0
                                        ; implicit-def: $vgpr15
	s_and_saveexec_b64 s[60:61], vcc
	s_cbranch_execz .LBB30_47
; %bb.63:                               ;   in Loop: Header=BB30_55 Depth=3
	v_add_u32_e32 v13, -4, v13
	v_cmp_eq_u32_e32 vcc, 0, v13
	s_mov_b64 s[56:57], exec
	v_add_u32_e32 v15, 1, v14
	s_orn2_b64 s[58:59], vcc, exec
	s_branch .LBB30_47
.LBB30_64:                              ;   in Loop: Header=BB30_46 Depth=2
	s_or_b64 exec, exec, s[36:37]
	s_xor_b64 s[30:31], s[30:31], -1
	s_and_saveexec_b64 s[36:37], s[30:31]
	s_xor_b64 s[30:31], exec, s[36:37]
	s_cbranch_execz .LBB30_45
; %bb.65:                               ;   in Loop: Header=BB30_46 Depth=2
	v_lshl_add_u32 v12, v14, 2, v0
	ds_read_b32 v12, v12
	v_lshlrev_b64 v[14:15], 3, v[8:9]
	v_add_co_u32_e32 v14, vcc, s12, v14
	s_waitcnt lgkmcnt(0)
	v_ashrrev_i32_e32 v13, 31, v12
	v_lshlrev_b64 v[12:13], 3, v[12:13]
	v_addc_co_u32_e32 v15, vcc, v22, v15, vcc
	v_add_co_u32_e32 v12, vcc, s12, v12
	v_addc_co_u32_e32 v13, vcc, v22, v13, vcc
	global_load_dwordx2 v[27:28], v[14:15], off
	global_load_dwordx2 v[29:30], v[12:13], off
	s_waitcnt vmcnt(0)
	v_fma_f32 v14, -v10, v27, v29
	v_fma_f32 v9, -v11, v27, v30
	v_fmac_f32_e32 v14, v11, v28
	v_fma_f32 v15, -v10, v28, v9
	global_store_dwordx2 v[12:13], v[14:15], off
	s_branch .LBB30_45
.LBB30_66:
	s_or_b64 exec, exec, s[6:7]
	v_cmp_lt_i32_e32 vcc, -1, v6
	s_and_saveexec_b64 s[6:7], vcc
	s_cbranch_execz .LBB30_88
; %bb.67:
	v_mov_b32_e32 v7, 0
	v_lshlrev_b64 v[8:9], 3, v[6:7]
	v_mov_b32_e32 v0, s13
	v_add_co_u32_e32 v10, vcc, s12, v8
	v_addc_co_u32_e32 v11, vcc, v0, v9, vcc
	global_load_dwordx2 v[8:9], v[10:11], off
	s_waitcnt vmcnt(0)
	v_cmp_gt_f32_e32 vcc, 0, v8
	v_cndmask_b32_e64 v0, v8, -v8, vcc
	v_cmp_gt_f32_e32 vcc, 0, v9
	v_cndmask_b32_e64 v6, v9, -v9, vcc
	v_cmp_ngt_f32_e32 vcc, v0, v6
	s_and_saveexec_b64 s[2:3], vcc
	s_xor_b64 s[8:9], exec, s[2:3]
	s_cbranch_execz .LBB30_71
; %bb.68:
	v_cmp_neq_f32_e32 vcc, 0, v9
	s_and_saveexec_b64 s[10:11], vcc
	s_cbranch_execz .LBB30_70
; %bb.69:
	v_div_scale_f32 v7, s[2:3], v6, v6, v0
	v_div_scale_f32 v12, vcc, v0, v6, v0
	s_mov_b32 s2, 0xf800000
	v_rcp_f32_e32 v13, v7
	v_fma_f32 v14, -v7, v13, 1.0
	v_fmac_f32_e32 v13, v14, v13
	v_mul_f32_e32 v14, v12, v13
	v_fma_f32 v15, -v7, v14, v12
	v_fmac_f32_e32 v14, v15, v13
	v_fma_f32 v7, -v7, v14, v12
	v_div_fmas_f32 v7, v7, v13, v14
	v_mov_b32_e32 v12, 0x260
	v_div_fixup_f32 v0, v7, v6, v0
	v_fma_f32 v0, v0, v0, 1.0
	v_mul_f32_e32 v7, 0x4f800000, v0
	v_cmp_gt_f32_e32 vcc, s2, v0
	v_cndmask_b32_e32 v0, v0, v7, vcc
	v_sqrt_f32_e32 v7, v0
	v_add_u32_e32 v13, -1, v7
	v_add_u32_e32 v14, 1, v7
	v_fma_f32 v15, -v13, v7, v0
	v_fma_f32 v16, -v14, v7, v0
	v_cmp_ge_f32_e64 s[2:3], 0, v15
	v_cndmask_b32_e64 v7, v7, v13, s[2:3]
	v_cmp_lt_f32_e64 s[2:3], 0, v16
	v_cndmask_b32_e64 v7, v7, v14, s[2:3]
	v_mul_f32_e32 v13, 0x37800000, v7
	v_cndmask_b32_e32 v7, v7, v13, vcc
	v_cmp_class_f32_e32 vcc, v0, v12
	v_cndmask_b32_e32 v0, v7, v0, vcc
	v_mul_f32_e32 v7, v6, v0
.LBB30_70:
	s_or_b64 exec, exec, s[10:11]
                                        ; implicit-def: $vgpr0
                                        ; implicit-def: $vgpr6
.LBB30_71:
	s_andn2_saveexec_b64 s[8:9], s[8:9]
	s_cbranch_execz .LBB30_73
; %bb.72:
	v_div_scale_f32 v7, s[2:3], v0, v0, v6
	v_div_scale_f32 v12, vcc, v6, v0, v6
	s_mov_b32 s2, 0xf800000
	v_rcp_f32_e32 v13, v7
	v_fma_f32 v14, -v7, v13, 1.0
	v_fmac_f32_e32 v13, v14, v13
	v_mul_f32_e32 v14, v12, v13
	v_fma_f32 v15, -v7, v14, v12
	v_fmac_f32_e32 v14, v15, v13
	v_fma_f32 v7, -v7, v14, v12
	v_div_fmas_f32 v7, v7, v13, v14
	v_mov_b32_e32 v12, 0x260
	v_div_fixup_f32 v6, v7, v0, v6
	v_fma_f32 v6, v6, v6, 1.0
	v_mul_f32_e32 v7, 0x4f800000, v6
	v_cmp_gt_f32_e32 vcc, s2, v6
	v_cndmask_b32_e32 v6, v6, v7, vcc
	v_sqrt_f32_e32 v7, v6
	v_add_u32_e32 v13, -1, v7
	v_add_u32_e32 v14, 1, v7
	v_fma_f32 v15, -v13, v7, v6
	v_fma_f32 v16, -v14, v7, v6
	v_cmp_ge_f32_e64 s[2:3], 0, v15
	v_cndmask_b32_e64 v7, v7, v13, s[2:3]
	v_cmp_lt_f32_e64 s[2:3], 0, v16
	v_cndmask_b32_e64 v7, v7, v14, s[2:3]
	v_mul_f32_e32 v13, 0x37800000, v7
	v_cndmask_b32_e32 v7, v7, v13, vcc
	v_cmp_class_f32_e32 vcc, v6, v12
	v_cndmask_b32_e32 v6, v7, v6, vcc
	v_mul_f32_e32 v7, v0, v6
.LBB30_73:
	s_or_b64 exec, exec, s[8:9]
	v_cvt_f64_f32_e32 v[6:7], v7
	v_cmp_eq_u32_e64 s[2:3], 0, v17
	s_and_b64 vcc, exec, s[0:1]
	s_mov_b64 s[0:1], -1
	s_cbranch_vccnz .LBB30_77
; %bb.74:
	v_cvt_f64_f32_e32 v[12:13], v18
	s_cmp_eq_u64 s[24:25], 8
	s_cselect_b64 vcc, -1, 0
	v_cndmask_b32_e32 v4, v13, v4, vcc
	v_cndmask_b32_e32 v3, v12, v3, vcc
	v_cmp_ge_f64_e32 vcc, v[3:4], v[6:7]
	s_and_b64 s[8:9], s[2:3], vcc
	s_and_saveexec_b64 s[0:1], s[8:9]
	s_cbranch_execz .LBB30_76
; %bb.75:
	v_mov_b32_e32 v3, s33
	v_mov_b32_e32 v4, s35
	global_store_dwordx2 v[10:11], v[3:4], off
	s_waitcnt vmcnt(0)
	buffer_wbinvl1_vol
.LBB30_76:
	s_or_b64 exec, exec, s[0:1]
	s_mov_b64 s[0:1], 0
.LBB30_77:
	s_andn2_b64 vcc, exec, s[0:1]
	s_cbranch_vccnz .LBB30_88
; %bb.78:
	s_load_dwordx2 s[0:1], s[4:5], 0x48
	v_add_u32_e32 v0, s34, v5
	s_waitcnt lgkmcnt(0)
	v_cmp_ge_f64_e32 vcc, s[0:1], v[6:7]
	s_and_b64 s[4:5], s[2:3], vcc
	s_and_saveexec_b64 s[0:1], s[4:5]
	s_cbranch_execz .LBB30_83
; %bb.79:
	s_mov_b64 s[4:5], exec
	s_brev_b32 s8, -2
.LBB30_80:                              ; =>This Inner Loop Header: Depth=1
	s_ff1_i32_b64 s9, s[4:5]
	v_readlane_b32 s12, v0, s9
	s_lshl_b64 s[10:11], 1, s9
	s_min_i32 s8, s8, s12
	s_andn2_b64 s[4:5], s[4:5], s[10:11]
	s_cmp_lg_u64 s[4:5], 0
	s_cbranch_scc1 .LBB30_80
; %bb.81:
	v_mbcnt_lo_u32_b32 v3, exec_lo, 0
	v_mbcnt_hi_u32_b32 v3, exec_hi, v3
	v_cmp_eq_u32_e32 vcc, 0, v3
	s_and_saveexec_b64 s[4:5], vcc
	s_xor_b64 s[4:5], exec, s[4:5]
	s_cbranch_execz .LBB30_83
; %bb.82:
	v_mov_b32_e32 v3, 0
	v_mov_b32_e32 v4, s8
	global_atomic_smin v3, v4, s[22:23]
.LBB30_83:
	s_or_b64 exec, exec, s[0:1]
	v_cmp_eq_f32_e32 vcc, 0, v8
	v_cmp_eq_f32_e64 s[0:1], 0, v9
	s_and_b64 s[0:1], vcc, s[0:1]
	s_and_b64 s[0:1], s[2:3], s[0:1]
	s_and_b64 exec, exec, s[0:1]
	s_cbranch_execz .LBB30_88
; %bb.84:
	s_mov_b64 s[0:1], exec
	s_brev_b32 s2, -2
.LBB30_85:                              ; =>This Inner Loop Header: Depth=1
	s_ff1_i32_b64 s3, s[0:1]
	v_readlane_b32 s8, v0, s3
	s_lshl_b64 s[4:5], 1, s3
	s_min_i32 s2, s2, s8
	s_andn2_b64 s[0:1], s[0:1], s[4:5]
	s_cmp_lg_u64 s[0:1], 0
	s_cbranch_scc1 .LBB30_85
; %bb.86:
	v_mbcnt_lo_u32_b32 v0, exec_lo, 0
	v_mbcnt_hi_u32_b32 v0, exec_hi, v0
	v_cmp_eq_u32_e32 vcc, 0, v0
	s_and_saveexec_b64 s[0:1], vcc
	s_xor_b64 s[0:1], exec, s[0:1]
	s_cbranch_execz .LBB30_88
; %bb.87:
	v_mov_b32_e32 v0, 0
	v_mov_b32_e32 v3, s2
	global_atomic_smin v0, v3, s[20:21]
.LBB30_88:
	s_or_b64 exec, exec, s[6:7]
	v_cmp_eq_u32_e32 vcc, 0, v17
	s_waitcnt vmcnt(0)
	buffer_wbinvl1_vol
	s_and_b64 exec, exec, vcc
	s_cbranch_execz .LBB30_90
; %bb.89:
	v_mov_b32_e32 v3, s17
	v_add_co_u32_e32 v0, vcc, s16, v1
	v_addc_co_u32_e32 v1, vcc, v3, v2, vcc
	v_mov_b32_e32 v2, 1
	global_store_dword v[0:1], v2, off
.LBB30_90:
	s_endpgm
	.section	.rodata,"a",@progbits
	.p2align	6, 0x0
	.amdhsa_kernel _ZN9rocsparseL12csrilu0_hashILj256ELj32ELj8E21rocsparse_complex_numIfEEEviPKiS4_PT2_S4_PiS4_S7_S7_d21rocsparse_index_base_imNS_24const_host_device_scalarIfEENS9_IdEENS9_IS5_EEb
		.amdhsa_group_segment_fixed_size 16384
		.amdhsa_private_segment_fixed_size 0
		.amdhsa_kernarg_size 124
		.amdhsa_user_sgpr_count 6
		.amdhsa_user_sgpr_private_segment_buffer 1
		.amdhsa_user_sgpr_dispatch_ptr 0
		.amdhsa_user_sgpr_queue_ptr 0
		.amdhsa_user_sgpr_kernarg_segment_ptr 1
		.amdhsa_user_sgpr_dispatch_id 0
		.amdhsa_user_sgpr_flat_scratch_init 0
		.amdhsa_user_sgpr_private_segment_size 0
		.amdhsa_uses_dynamic_stack 0
		.amdhsa_system_sgpr_private_segment_wavefront_offset 0
		.amdhsa_system_sgpr_workgroup_id_x 1
		.amdhsa_system_sgpr_workgroup_id_y 0
		.amdhsa_system_sgpr_workgroup_id_z 0
		.amdhsa_system_sgpr_workgroup_info 0
		.amdhsa_system_vgpr_workitem_id 0
		.amdhsa_next_free_vgpr 49
		.amdhsa_next_free_sgpr 98
		.amdhsa_reserve_vcc 1
		.amdhsa_reserve_flat_scratch 0
		.amdhsa_float_round_mode_32 0
		.amdhsa_float_round_mode_16_64 0
		.amdhsa_float_denorm_mode_32 3
		.amdhsa_float_denorm_mode_16_64 3
		.amdhsa_dx10_clamp 1
		.amdhsa_ieee_mode 1
		.amdhsa_fp16_overflow 0
		.amdhsa_exception_fp_ieee_invalid_op 0
		.amdhsa_exception_fp_denorm_src 0
		.amdhsa_exception_fp_ieee_div_zero 0
		.amdhsa_exception_fp_ieee_overflow 0
		.amdhsa_exception_fp_ieee_underflow 0
		.amdhsa_exception_fp_ieee_inexact 0
		.amdhsa_exception_int_div_zero 0
	.end_amdhsa_kernel
	.section	.text._ZN9rocsparseL12csrilu0_hashILj256ELj32ELj8E21rocsparse_complex_numIfEEEviPKiS4_PT2_S4_PiS4_S7_S7_d21rocsparse_index_base_imNS_24const_host_device_scalarIfEENS9_IdEENS9_IS5_EEb,"axG",@progbits,_ZN9rocsparseL12csrilu0_hashILj256ELj32ELj8E21rocsparse_complex_numIfEEEviPKiS4_PT2_S4_PiS4_S7_S7_d21rocsparse_index_base_imNS_24const_host_device_scalarIfEENS9_IdEENS9_IS5_EEb,comdat
.Lfunc_end30:
	.size	_ZN9rocsparseL12csrilu0_hashILj256ELj32ELj8E21rocsparse_complex_numIfEEEviPKiS4_PT2_S4_PiS4_S7_S7_d21rocsparse_index_base_imNS_24const_host_device_scalarIfEENS9_IdEENS9_IS5_EEb, .Lfunc_end30-_ZN9rocsparseL12csrilu0_hashILj256ELj32ELj8E21rocsparse_complex_numIfEEEviPKiS4_PT2_S4_PiS4_S7_S7_d21rocsparse_index_base_imNS_24const_host_device_scalarIfEENS9_IdEENS9_IS5_EEb
                                        ; -- End function
	.set _ZN9rocsparseL12csrilu0_hashILj256ELj32ELj8E21rocsparse_complex_numIfEEEviPKiS4_PT2_S4_PiS4_S7_S7_d21rocsparse_index_base_imNS_24const_host_device_scalarIfEENS9_IdEENS9_IS5_EEb.num_vgpr, 31
	.set _ZN9rocsparseL12csrilu0_hashILj256ELj32ELj8E21rocsparse_complex_numIfEEEviPKiS4_PT2_S4_PiS4_S7_S7_d21rocsparse_index_base_imNS_24const_host_device_scalarIfEENS9_IdEENS9_IS5_EEb.num_agpr, 0
	.set _ZN9rocsparseL12csrilu0_hashILj256ELj32ELj8E21rocsparse_complex_numIfEEEviPKiS4_PT2_S4_PiS4_S7_S7_d21rocsparse_index_base_imNS_24const_host_device_scalarIfEENS9_IdEENS9_IS5_EEb.numbered_sgpr, 62
	.set _ZN9rocsparseL12csrilu0_hashILj256ELj32ELj8E21rocsparse_complex_numIfEEEviPKiS4_PT2_S4_PiS4_S7_S7_d21rocsparse_index_base_imNS_24const_host_device_scalarIfEENS9_IdEENS9_IS5_EEb.num_named_barrier, 0
	.set _ZN9rocsparseL12csrilu0_hashILj256ELj32ELj8E21rocsparse_complex_numIfEEEviPKiS4_PT2_S4_PiS4_S7_S7_d21rocsparse_index_base_imNS_24const_host_device_scalarIfEENS9_IdEENS9_IS5_EEb.private_seg_size, 0
	.set _ZN9rocsparseL12csrilu0_hashILj256ELj32ELj8E21rocsparse_complex_numIfEEEviPKiS4_PT2_S4_PiS4_S7_S7_d21rocsparse_index_base_imNS_24const_host_device_scalarIfEENS9_IdEENS9_IS5_EEb.uses_vcc, 1
	.set _ZN9rocsparseL12csrilu0_hashILj256ELj32ELj8E21rocsparse_complex_numIfEEEviPKiS4_PT2_S4_PiS4_S7_S7_d21rocsparse_index_base_imNS_24const_host_device_scalarIfEENS9_IdEENS9_IS5_EEb.uses_flat_scratch, 0
	.set _ZN9rocsparseL12csrilu0_hashILj256ELj32ELj8E21rocsparse_complex_numIfEEEviPKiS4_PT2_S4_PiS4_S7_S7_d21rocsparse_index_base_imNS_24const_host_device_scalarIfEENS9_IdEENS9_IS5_EEb.has_dyn_sized_stack, 0
	.set _ZN9rocsparseL12csrilu0_hashILj256ELj32ELj8E21rocsparse_complex_numIfEEEviPKiS4_PT2_S4_PiS4_S7_S7_d21rocsparse_index_base_imNS_24const_host_device_scalarIfEENS9_IdEENS9_IS5_EEb.has_recursion, 0
	.set _ZN9rocsparseL12csrilu0_hashILj256ELj32ELj8E21rocsparse_complex_numIfEEEviPKiS4_PT2_S4_PiS4_S7_S7_d21rocsparse_index_base_imNS_24const_host_device_scalarIfEENS9_IdEENS9_IS5_EEb.has_indirect_call, 0
	.section	.AMDGPU.csdata,"",@progbits
; Kernel info:
; codeLenInByte = 3164
; TotalNumSgprs: 66
; NumVgprs: 31
; ScratchSize: 0
; MemoryBound: 0
; FloatMode: 240
; IeeeMode: 1
; LDSByteSize: 16384 bytes/workgroup (compile time only)
; SGPRBlocks: 12
; VGPRBlocks: 12
; NumSGPRsForWavesPerEU: 102
; NumVGPRsForWavesPerEU: 49
; Occupancy: 4
; WaveLimiterHint : 1
; COMPUTE_PGM_RSRC2:SCRATCH_EN: 0
; COMPUTE_PGM_RSRC2:USER_SGPR: 6
; COMPUTE_PGM_RSRC2:TRAP_HANDLER: 0
; COMPUTE_PGM_RSRC2:TGID_X_EN: 1
; COMPUTE_PGM_RSRC2:TGID_Y_EN: 0
; COMPUTE_PGM_RSRC2:TGID_Z_EN: 0
; COMPUTE_PGM_RSRC2:TIDIG_COMP_CNT: 0
	.section	.text._ZN9rocsparseL12csrilu0_hashILj256ELj32ELj16E21rocsparse_complex_numIfEEEviPKiS4_PT2_S4_PiS4_S7_S7_d21rocsparse_index_base_imNS_24const_host_device_scalarIfEENS9_IdEENS9_IS5_EEb,"axG",@progbits,_ZN9rocsparseL12csrilu0_hashILj256ELj32ELj16E21rocsparse_complex_numIfEEEviPKiS4_PT2_S4_PiS4_S7_S7_d21rocsparse_index_base_imNS_24const_host_device_scalarIfEENS9_IdEENS9_IS5_EEb,comdat
	.globl	_ZN9rocsparseL12csrilu0_hashILj256ELj32ELj16E21rocsparse_complex_numIfEEEviPKiS4_PT2_S4_PiS4_S7_S7_d21rocsparse_index_base_imNS_24const_host_device_scalarIfEENS9_IdEENS9_IS5_EEb ; -- Begin function _ZN9rocsparseL12csrilu0_hashILj256ELj32ELj16E21rocsparse_complex_numIfEEEviPKiS4_PT2_S4_PiS4_S7_S7_d21rocsparse_index_base_imNS_24const_host_device_scalarIfEENS9_IdEENS9_IS5_EEb
	.p2align	8
	.type	_ZN9rocsparseL12csrilu0_hashILj256ELj32ELj16E21rocsparse_complex_numIfEEEviPKiS4_PT2_S4_PiS4_S7_S7_d21rocsparse_index_base_imNS_24const_host_device_scalarIfEENS9_IdEENS9_IS5_EEb,@function
_ZN9rocsparseL12csrilu0_hashILj256ELj32ELj16E21rocsparse_complex_numIfEEEviPKiS4_PT2_S4_PiS4_S7_S7_d21rocsparse_index_base_imNS_24const_host_device_scalarIfEENS9_IdEENS9_IS5_EEb: ; @_ZN9rocsparseL12csrilu0_hashILj256ELj32ELj16E21rocsparse_complex_numIfEEEviPKiS4_PT2_S4_PiS4_S7_S7_d21rocsparse_index_base_imNS_24const_host_device_scalarIfEENS9_IdEENS9_IS5_EEb
; %bb.0:
	s_load_dword s0, s[4:5], 0x78
	s_load_dwordx2 s[34:35], s[4:5], 0x50
	s_load_dwordx8 s[24:31], s[4:5], 0x58
	s_waitcnt lgkmcnt(0)
	s_bitcmp1_b32 s0, 0
	s_cselect_b64 s[2:3], -1, 0
	s_cmp_eq_u32 s35, 0
	s_cselect_b64 s[12:13], -1, 0
	s_cmp_lg_u32 s35, 0
	s_cselect_b64 s[8:9], -1, 0
	s_or_b64 s[14:15], s[12:13], s[2:3]
	s_xor_b64 s[0:1], s[14:15], -1
	s_and_b64 s[10:11], s[12:13], exec
	s_cselect_b32 s11, 0, s29
	s_cselect_b32 s10, 0, s28
	s_and_b64 vcc, exec, s[14:15]
	s_cbranch_vccnz .LBB31_2
; %bb.1:
	s_load_dword s7, s[26:27], 0x0
	s_mov_b64 s[10:11], s[28:29]
	s_waitcnt lgkmcnt(0)
	v_mov_b32_e32 v18, s7
	v_mov_b32_e32 v3, s10
	s_andn2_b64 vcc, exec, s[0:1]
	v_mov_b32_e32 v4, s11
	s_cbranch_vccz .LBB31_3
	s_branch .LBB31_4
.LBB31_2:
	v_mov_b32_e32 v1, s26
	v_cndmask_b32_e64 v18, v1, 0, s[12:13]
	v_mov_b32_e32 v3, s10
	s_andn2_b64 vcc, exec, s[0:1]
	v_mov_b32_e32 v4, s11
	s_cbranch_vccnz .LBB31_4
.LBB31_3:
	v_mov_b32_e32 v1, s28
	v_mov_b32_e32 v2, s29
	flat_load_dwordx2 v[3:4], v[1:2]
.LBB31_4:
	v_cndmask_b32_e64 v1, 0, 1, s[8:9]
	s_mov_b32 s33, 0
	v_cmp_ne_u32_e64 s[0:1], 1, v1
	s_andn2_b64 vcc, exec, s[8:9]
	s_mov_b32 s35, 0
	s_cbranch_vccnz .LBB31_10
; %bb.5:
	s_xor_b64 s[8:9], s[2:3], -1
	v_cndmask_b32_e64 v1, 0, 1, s[8:9]
	v_cmp_ne_u32_e64 s[2:3], 1, v1
	s_andn2_b64 vcc, exec, s[8:9]
	s_mov_b32 s33, s30
	s_cbranch_vccnz .LBB31_7
; %bb.6:
	s_load_dword s33, s[30:31], 0x0
.LBB31_7:
	s_and_b64 vcc, exec, s[2:3]
	s_cbranch_vccnz .LBB31_9
; %bb.8:
	s_load_dword s31, s[30:31], 0x4
.LBB31_9:
	s_waitcnt lgkmcnt(0)
	s_mov_b32 s35, s31
.LBB31_10:
	v_and_b32_e32 v17, 31, v0
	v_lshrrev_b32_e32 v1, 5, v0
	v_lshlrev_b32_e32 v5, 11, v1
	v_lshlrev_b32_e32 v6, 2, v17
	s_movk_i32 s2, 0x4000
	v_or_b32_e32 v2, 0xffffffe0, v17
	v_or3_b32 v5, v5, v6, s2
	s_mov_b64 s[2:3], 0
	v_mov_b32_e32 v6, -1
	s_movk_i32 s7, 0x1df
.LBB31_11:                              ; =>This Inner Loop Header: Depth=1
	v_add_u32_e32 v2, 32, v2
	v_cmp_lt_u32_e32 vcc, s7, v2
	ds_write_b32 v5, v6
	s_or_b64 s[2:3], vcc, s[2:3]
	v_add_u32_e32 v5, 0x80, v5
	s_andn2_b64 exec, exec, s[2:3]
	s_cbranch_execnz .LBB31_11
; %bb.12:
	s_or_b64 exec, exec, s[2:3]
	s_load_dword s2, s[4:5], 0x0
	s_lshl_b32 s3, s6, 3
	s_and_b32 s3, s3, 0x7fffff8
	v_or_b32_e32 v1, s3, v1
	s_waitcnt lgkmcnt(0)
	v_cmp_gt_i32_e32 vcc, s2, v1
	s_and_saveexec_b64 s[2:3], vcc
	s_cbranch_execz .LBB31_90
; %bb.13:
	s_load_dwordx16 s[8:23], s[4:5], 0x8
	v_lshlrev_b32_e32 v1, 2, v1
	v_lshlrev_b32_e32 v0, 6, v0
	v_and_b32_e32 v0, 0x3800, v0
	v_or_b32_e32 v19, 0x4000, v0
	s_waitcnt lgkmcnt(0)
	global_load_dword v5, v1, s[18:19]
	v_mov_b32_e32 v7, s9
	v_mov_b32_e32 v10, s15
	s_waitcnt vmcnt(0)
	v_ashrrev_i32_e32 v6, 31, v5
	v_lshlrev_b64 v[1:2], 2, v[5:6]
	v_add_co_u32_e32 v6, vcc, s8, v1
	v_addc_co_u32_e32 v7, vcc, v7, v2, vcc
	global_load_dwordx2 v[7:8], v[6:7], off
	v_add_co_u32_e32 v9, vcc, s14, v1
	v_addc_co_u32_e32 v10, vcc, v10, v2, vcc
	global_load_dword v6, v[9:10], off
	s_waitcnt vmcnt(1)
	v_subrev_u32_e32 v7, s34, v7
	v_subrev_u32_e32 v10, s34, v8
	v_add_u32_e32 v8, v7, v17
	v_cmp_lt_i32_e32 vcc, v8, v10
	s_and_saveexec_b64 s[2:3], vcc
	s_cbranch_execz .LBB31_36
; %bb.14:
	s_mov_b64 s[6:7], 0
	v_mov_b32_e32 v11, s11
	s_movk_i32 s56, 0x67
	v_mov_b32_e32 v12, -1
	s_branch .LBB31_16
.LBB31_15:                              ;   in Loop: Header=BB31_16 Depth=1
	s_or_b64 exec, exec, s[18:19]
	v_add_u32_e32 v8, 32, v8
	v_cmp_ge_i32_e32 vcc, v8, v10
	s_or_b64 s[6:7], vcc, s[6:7]
	s_andn2_b64 exec, exec, s[6:7]
	s_cbranch_execz .LBB31_36
.LBB31_16:                              ; =>This Loop Header: Depth=1
                                        ;     Child Loop BB31_25 Depth 2
	v_ashrrev_i32_e32 v9, 31, v8
	v_lshlrev_b64 v[13:14], 2, v[8:9]
	s_mov_b64 s[26:27], 0
	v_add_co_u32_e32 v13, vcc, s10, v13
	v_addc_co_u32_e32 v14, vcc, v11, v14, vcc
	global_load_dword v9, v[13:14], off
	v_mov_b32_e32 v13, 0x200
                                        ; implicit-def: $sgpr18_sgpr19
                                        ; implicit-def: $sgpr28_sgpr29
                                        ; implicit-def: $sgpr30_sgpr31
	s_waitcnt vmcnt(0)
	v_mul_lo_u32 v15, v9, s56
	s_branch .LBB31_25
.LBB31_17:                              ;   in Loop: Header=BB31_25 Depth=2
	s_or_b64 exec, exec, s[54:55]
	s_orn2_b64 s[50:51], s[50:51], exec
	s_orn2_b64 s[52:53], s[52:53], exec
.LBB31_18:                              ;   in Loop: Header=BB31_25 Depth=2
	s_or_b64 exec, exec, s[48:49]
	s_and_b64 s[50:51], s[50:51], exec
	s_orn2_b64 s[48:49], s[52:53], exec
.LBB31_19:                              ;   in Loop: Header=BB31_25 Depth=2
	s_or_b64 exec, exec, s[46:47]
	s_orn2_b64 s[50:51], s[50:51], exec
	s_orn2_b64 s[46:47], s[48:49], exec
.LBB31_20:                              ;   in Loop: Header=BB31_25 Depth=2
	s_or_b64 exec, exec, s[44:45]
	s_and_b64 s[48:49], s[50:51], exec
	s_orn2_b64 s[44:45], s[46:47], exec
.LBB31_21:                              ;   in Loop: Header=BB31_25 Depth=2
	s_or_b64 exec, exec, s[42:43]
	s_orn2_b64 s[42:43], s[48:49], exec
	s_orn2_b64 s[44:45], s[44:45], exec
.LBB31_22:                              ;   in Loop: Header=BB31_25 Depth=2
	s_or_b64 exec, exec, s[40:41]
	s_and_b64 s[42:43], s[42:43], exec
	s_orn2_b64 s[40:41], s[44:45], exec
.LBB31_23:                              ;   in Loop: Header=BB31_25 Depth=2
	s_or_b64 exec, exec, s[38:39]
	s_andn2_b64 s[30:31], s[30:31], exec
	s_and_b64 s[38:39], s[42:43], exec
	s_or_b64 s[30:31], s[30:31], s[38:39]
	s_andn2_b64 s[28:29], s[28:29], exec
	s_and_b64 s[38:39], s[40:41], exec
	s_or_b64 s[28:29], s[28:29], s[38:39]
.LBB31_24:                              ;   in Loop: Header=BB31_25 Depth=2
	s_or_b64 exec, exec, s[36:37]
	s_and_b64 s[36:37], exec, s[28:29]
	s_or_b64 s[26:27], s[36:37], s[26:27]
	s_andn2_b64 s[18:19], s[18:19], exec
	s_and_b64 s[36:37], s[30:31], exec
	s_or_b64 s[18:19], s[18:19], s[36:37]
	s_andn2_b64 exec, exec, s[26:27]
	s_cbranch_execz .LBB31_34
.LBB31_25:                              ;   Parent Loop BB31_16 Depth=1
                                        ; =>  This Inner Loop Header: Depth=2
	v_and_b32_e32 v14, 0x1ff, v15
	v_lshl_add_u32 v16, v14, 2, v19
	ds_read_b32 v20, v16
	s_or_b64 s[30:31], s[30:31], exec
	s_or_b64 s[28:29], s[28:29], exec
	s_waitcnt lgkmcnt(0)
	v_cmp_ne_u32_e32 vcc, v20, v9
	s_and_saveexec_b64 s[36:37], vcc
	s_cbranch_execz .LBB31_24
; %bb.26:                               ;   in Loop: Header=BB31_25 Depth=2
	ds_cmpst_rtn_b32 v16, v16, v12, v9
	s_mov_b64 s[40:41], -1
	s_mov_b64 s[42:43], 0
	s_waitcnt lgkmcnt(0)
	v_cmp_ne_u32_e32 vcc, -1, v16
	s_and_saveexec_b64 s[38:39], vcc
	s_cbranch_execz .LBB31_23
; %bb.27:                               ;   in Loop: Header=BB31_25 Depth=2
	v_add_u32_e32 v14, 1, v15
	v_and_b32_e32 v14, 0x1ff, v14
	v_lshl_add_u32 v16, v14, 2, v19
	ds_read_b32 v20, v16
	s_mov_b64 s[44:45], -1
	s_mov_b64 s[42:43], -1
	s_waitcnt lgkmcnt(0)
	v_cmp_ne_u32_e32 vcc, v20, v9
	s_and_saveexec_b64 s[40:41], vcc
	s_cbranch_execz .LBB31_22
; %bb.28:                               ;   in Loop: Header=BB31_25 Depth=2
	ds_cmpst_rtn_b32 v16, v16, v12, v9
	s_mov_b64 s[48:49], 0
	s_waitcnt lgkmcnt(0)
	v_cmp_ne_u32_e32 vcc, -1, v16
	s_and_saveexec_b64 s[42:43], vcc
	s_cbranch_execz .LBB31_21
; %bb.29:                               ;   in Loop: Header=BB31_25 Depth=2
	v_add_u32_e32 v14, 2, v15
	v_and_b32_e32 v14, 0x1ff, v14
	v_lshl_add_u32 v16, v14, 2, v19
	ds_read_b32 v20, v16
	s_mov_b64 s[46:47], -1
	s_mov_b64 s[50:51], -1
	s_waitcnt lgkmcnt(0)
	v_cmp_ne_u32_e32 vcc, v20, v9
	s_and_saveexec_b64 s[44:45], vcc
	s_cbranch_execz .LBB31_20
; %bb.30:                               ;   in Loop: Header=BB31_25 Depth=2
	ds_cmpst_rtn_b32 v16, v16, v12, v9
	s_mov_b64 s[48:49], -1
	s_mov_b64 s[50:51], 0
	s_waitcnt lgkmcnt(0)
	v_cmp_ne_u32_e32 vcc, -1, v16
	s_and_saveexec_b64 s[46:47], vcc
	s_cbranch_execz .LBB31_19
; %bb.31:                               ;   in Loop: Header=BB31_25 Depth=2
	v_add_u32_e32 v14, 3, v15
	v_and_b32_e32 v14, 0x1ff, v14
	v_lshl_add_u32 v16, v14, 2, v19
	ds_read_b32 v15, v16
	s_mov_b64 s[52:53], -1
	s_mov_b64 s[50:51], -1
	s_waitcnt lgkmcnt(0)
	v_cmp_ne_u32_e32 vcc, v15, v9
                                        ; implicit-def: $vgpr15
	s_and_saveexec_b64 s[48:49], vcc
	s_cbranch_execz .LBB31_18
; %bb.32:                               ;   in Loop: Header=BB31_25 Depth=2
	ds_cmpst_rtn_b32 v15, v16, v12, v9
	s_mov_b64 s[50:51], 0
	s_waitcnt lgkmcnt(0)
	v_cmp_ne_u32_e32 vcc, -1, v15
                                        ; implicit-def: $vgpr15
	s_and_saveexec_b64 s[54:55], vcc
	s_cbranch_execz .LBB31_17
; %bb.33:                               ;   in Loop: Header=BB31_25 Depth=2
	v_add_u32_e32 v13, -4, v13
	v_cmp_eq_u32_e32 vcc, 0, v13
	s_mov_b64 s[50:51], exec
	v_add_u32_e32 v15, 1, v14
	s_orn2_b64 s[52:53], vcc, exec
	s_branch .LBB31_17
.LBB31_34:                              ;   in Loop: Header=BB31_16 Depth=1
	s_or_b64 exec, exec, s[26:27]
	s_xor_b64 s[18:19], s[18:19], -1
	s_and_saveexec_b64 s[26:27], s[18:19]
	s_xor_b64 s[18:19], exec, s[26:27]
	s_cbranch_execz .LBB31_15
; %bb.35:                               ;   in Loop: Header=BB31_16 Depth=1
	v_lshl_add_u32 v9, v14, 2, v0
	ds_write_b32 v9, v8
	s_branch .LBB31_15
.LBB31_36:
	s_or_b64 exec, exec, s[2:3]
	s_waitcnt vmcnt(0)
	v_cmp_lt_i32_e32 vcc, v7, v6
	s_waitcnt lgkmcnt(0)
	s_and_saveexec_b64 s[6:7], vcc
	s_cbranch_execz .LBB31_66
; %bb.37:
	v_add_u32_e32 v20, 1, v17
	s_mov_b64 s[18:19], 0
	v_mov_b32_e32 v21, s11
	v_mov_b32_e32 v22, s13
	;; [unrolled: 1-line block ×5, first 2 shown]
	s_movk_i32 s9, 0x67
	s_branch .LBB31_40
.LBB31_38:                              ;   in Loop: Header=BB31_40 Depth=1
	s_or_b64 exec, exec, s[26:27]
	v_add_u32_e32 v7, 1, v7
	v_cmp_ge_i32_e32 vcc, v7, v6
	s_orn2_b64 s[26:27], vcc, exec
.LBB31_39:                              ;   in Loop: Header=BB31_40 Depth=1
	s_or_b64 exec, exec, s[2:3]
	s_and_b64 s[2:3], exec, s[26:27]
	s_or_b64 s[18:19], s[2:3], s[18:19]
	s_andn2_b64 exec, exec, s[18:19]
	s_cbranch_execz .LBB31_66
.LBB31_40:                              ; =>This Loop Header: Depth=1
                                        ;     Child Loop BB31_41 Depth 2
                                        ;     Child Loop BB31_46 Depth 2
                                        ;       Child Loop BB31_55 Depth 3
	v_ashrrev_i32_e32 v8, 31, v7
	v_lshlrev_b64 v[9:10], 2, v[7:8]
	s_mov_b64 s[2:3], 0
	v_add_co_u32_e32 v9, vcc, s10, v9
	v_addc_co_u32_e32 v10, vcc, v21, v10, vcc
	global_load_dword v11, v[9:10], off
	v_lshlrev_b64 v[8:9], 3, v[7:8]
	v_add_co_u32_e32 v12, vcc, s12, v8
	v_addc_co_u32_e32 v13, vcc, v22, v9, vcc
	global_load_dwordx2 v[9:10], v[12:13], off
	s_waitcnt vmcnt(1)
	v_subrev_u32_e32 v14, s34, v11
	v_ashrrev_i32_e32 v15, 31, v14
	v_lshlrev_b64 v[14:15], 2, v[14:15]
	v_add_co_u32_e32 v26, vcc, s8, v14
	v_addc_co_u32_e32 v27, vcc, v23, v15, vcc
	v_add_co_u32_e32 v28, vcc, s14, v14
	v_addc_co_u32_e32 v29, vcc, v24, v15, vcc
	global_load_dword v8, v[26:27], off offset:4
	global_load_dword v11, v[28:29], off
	v_add_co_u32_e32 v14, vcc, s16, v14
	v_addc_co_u32_e32 v15, vcc, v25, v15, vcc
.LBB31_41:                              ;   Parent Loop BB31_40 Depth=1
                                        ; =>  This Inner Loop Header: Depth=2
	global_load_dword v16, v[14:15], off glc
	s_waitcnt vmcnt(0)
	v_cmp_ne_u32_e32 vcc, 0, v16
	s_or_b64 s[2:3], vcc, s[2:3]
	s_andn2_b64 exec, exec, s[2:3]
	s_cbranch_execnz .LBB31_41
; %bb.42:                               ;   in Loop: Header=BB31_40 Depth=1
	s_or_b64 exec, exec, s[2:3]
	v_subrev_u32_e32 v26, s34, v8
	v_add_u32_e32 v8, -1, v26
	v_cmp_eq_u32_e32 vcc, -1, v11
	v_cndmask_b32_e32 v14, v11, v8, vcc
	v_ashrrev_i32_e32 v15, 31, v14
	v_lshlrev_b64 v[15:16], 3, v[14:15]
	buffer_wbinvl1_vol
	v_add_co_u32_e32 v15, vcc, s12, v15
	v_addc_co_u32_e32 v16, vcc, v22, v16, vcc
	global_load_dwordx2 v[15:16], v[15:16], off
	s_mov_b64 s[26:27], -1
	s_waitcnt vmcnt(0)
	v_cmp_neq_f32_e32 vcc, 0, v15
	v_cmp_neq_f32_e64 s[2:3], 0, v16
	s_or_b64 s[28:29], vcc, s[2:3]
	s_and_saveexec_b64 s[2:3], s[28:29]
	s_cbranch_execz .LBB31_39
; %bb.43:                               ;   in Loop: Header=BB31_40 Depth=1
	v_mul_f32_e32 v11, v16, v16
	v_fmac_f32_e32 v11, v15, v15
	v_div_scale_f32 v8, s[26:27], v11, v11, 1.0
	v_div_scale_f32 v27, vcc, 1.0, v11, 1.0
	v_rcp_f32_e32 v28, v8
	v_fma_f32 v29, -v8, v28, 1.0
	v_fmac_f32_e32 v28, v29, v28
	v_mul_f32_e32 v29, v27, v28
	v_fma_f32 v30, -v8, v29, v27
	v_fmac_f32_e32 v29, v30, v28
	v_fma_f32 v8, -v8, v29, v27
	v_div_fmas_f32 v27, v8, v28, v29
	v_mul_f32_e32 v28, v10, v16
	v_mul_f32_e64 v16, v16, -v9
	v_add_u32_e32 v8, v20, v14
	v_fmac_f32_e32 v28, v9, v15
	v_fmac_f32_e32 v16, v10, v15
	v_cmp_lt_i32_e32 vcc, v8, v26
	v_div_fixup_f32 v9, v27, v11, 1.0
	v_mul_f32_e32 v10, v28, v9
	v_mul_f32_e32 v11, v16, v9
	global_store_dwordx2 v[12:13], v[10:11], off
	s_and_saveexec_b64 s[26:27], vcc
	s_cbranch_execz .LBB31_38
; %bb.44:                               ;   in Loop: Header=BB31_40 Depth=1
	s_mov_b64 s[28:29], 0
	s_branch .LBB31_46
.LBB31_45:                              ;   in Loop: Header=BB31_46 Depth=2
	s_or_b64 exec, exec, s[30:31]
	v_add_u32_e32 v8, 32, v8
	v_cmp_ge_i32_e32 vcc, v8, v26
	s_or_b64 s[28:29], vcc, s[28:29]
	s_andn2_b64 exec, exec, s[28:29]
	s_cbranch_execz .LBB31_38
.LBB31_46:                              ;   Parent Loop BB31_40 Depth=1
                                        ; =>  This Loop Header: Depth=2
                                        ;       Child Loop BB31_55 Depth 3
	v_ashrrev_i32_e32 v9, 31, v8
	v_lshlrev_b64 v[12:13], 2, v[8:9]
	s_mov_b64 s[36:37], 0
	v_add_co_u32_e32 v12, vcc, s10, v12
	v_addc_co_u32_e32 v13, vcc, v21, v13, vcc
	global_load_dword v12, v[12:13], off
	v_mov_b32_e32 v13, 0x200
                                        ; implicit-def: $sgpr30_sgpr31
                                        ; implicit-def: $sgpr38_sgpr39
                                        ; implicit-def: $sgpr40_sgpr41
	s_waitcnt vmcnt(0)
	v_mul_lo_u32 v15, v12, s9
	s_branch .LBB31_55
.LBB31_47:                              ;   in Loop: Header=BB31_55 Depth=3
	s_or_b64 exec, exec, s[60:61]
	s_orn2_b64 s[56:57], s[56:57], exec
	s_orn2_b64 s[58:59], s[58:59], exec
.LBB31_48:                              ;   in Loop: Header=BB31_55 Depth=3
	s_or_b64 exec, exec, s[54:55]
	s_and_b64 s[56:57], s[56:57], exec
	s_orn2_b64 s[54:55], s[58:59], exec
.LBB31_49:                              ;   in Loop: Header=BB31_55 Depth=3
	s_or_b64 exec, exec, s[52:53]
	s_orn2_b64 s[56:57], s[56:57], exec
	s_orn2_b64 s[52:53], s[54:55], exec
.LBB31_50:                              ;   in Loop: Header=BB31_55 Depth=3
	s_or_b64 exec, exec, s[50:51]
	s_and_b64 s[54:55], s[56:57], exec
	s_orn2_b64 s[50:51], s[52:53], exec
.LBB31_51:                              ;   in Loop: Header=BB31_55 Depth=3
	s_or_b64 exec, exec, s[48:49]
	s_orn2_b64 s[48:49], s[54:55], exec
	s_orn2_b64 s[50:51], s[50:51], exec
.LBB31_52:                              ;   in Loop: Header=BB31_55 Depth=3
	s_or_b64 exec, exec, s[46:47]
	s_and_b64 s[48:49], s[48:49], exec
	s_orn2_b64 s[46:47], s[50:51], exec
.LBB31_53:                              ;   in Loop: Header=BB31_55 Depth=3
	s_or_b64 exec, exec, s[44:45]
	s_andn2_b64 s[40:41], s[40:41], exec
	s_and_b64 s[44:45], s[48:49], exec
	s_or_b64 s[40:41], s[40:41], s[44:45]
	s_andn2_b64 s[38:39], s[38:39], exec
	s_and_b64 s[44:45], s[46:47], exec
	s_or_b64 s[38:39], s[38:39], s[44:45]
.LBB31_54:                              ;   in Loop: Header=BB31_55 Depth=3
	s_or_b64 exec, exec, s[42:43]
	s_and_b64 s[42:43], exec, s[38:39]
	s_or_b64 s[36:37], s[42:43], s[36:37]
	s_andn2_b64 s[30:31], s[30:31], exec
	s_and_b64 s[42:43], s[40:41], exec
	s_or_b64 s[30:31], s[30:31], s[42:43]
	s_andn2_b64 exec, exec, s[36:37]
	s_cbranch_execz .LBB31_64
.LBB31_55:                              ;   Parent Loop BB31_40 Depth=1
                                        ;     Parent Loop BB31_46 Depth=2
                                        ; =>    This Inner Loop Header: Depth=3
	v_and_b32_e32 v14, 0x1ff, v15
	v_lshl_add_u32 v16, v14, 2, v19
	ds_read_b32 v16, v16
	s_or_b64 s[40:41], s[40:41], exec
	s_or_b64 s[38:39], s[38:39], exec
	s_waitcnt lgkmcnt(0)
	v_cmp_ne_u32_e32 vcc, -1, v16
	s_and_saveexec_b64 s[42:43], vcc
	s_cbranch_execz .LBB31_54
; %bb.56:                               ;   in Loop: Header=BB31_55 Depth=3
	v_cmp_ne_u32_e32 vcc, v16, v12
	s_mov_b64 s[46:47], -1
	s_mov_b64 s[48:49], 0
	s_and_saveexec_b64 s[44:45], vcc
	s_cbranch_execz .LBB31_53
; %bb.57:                               ;   in Loop: Header=BB31_55 Depth=3
	v_add_u32_e32 v14, 1, v15
	v_and_b32_e32 v14, 0x1ff, v14
	v_lshl_add_u32 v16, v14, 2, v19
	ds_read_b32 v16, v16
	s_mov_b64 s[50:51], -1
	s_mov_b64 s[48:49], -1
	s_waitcnt lgkmcnt(0)
	v_cmp_ne_u32_e32 vcc, -1, v16
	s_and_saveexec_b64 s[46:47], vcc
	s_cbranch_execz .LBB31_52
; %bb.58:                               ;   in Loop: Header=BB31_55 Depth=3
	v_cmp_ne_u32_e32 vcc, v16, v12
	s_mov_b64 s[54:55], 0
	s_and_saveexec_b64 s[48:49], vcc
	s_cbranch_execz .LBB31_51
; %bb.59:                               ;   in Loop: Header=BB31_55 Depth=3
	v_add_u32_e32 v14, 2, v15
	v_and_b32_e32 v14, 0x1ff, v14
	v_lshl_add_u32 v16, v14, 2, v19
	ds_read_b32 v16, v16
	s_mov_b64 s[52:53], -1
	s_mov_b64 s[56:57], -1
	s_waitcnt lgkmcnt(0)
	v_cmp_ne_u32_e32 vcc, -1, v16
	s_and_saveexec_b64 s[50:51], vcc
	s_cbranch_execz .LBB31_50
; %bb.60:                               ;   in Loop: Header=BB31_55 Depth=3
	v_cmp_ne_u32_e32 vcc, v16, v12
	s_mov_b64 s[54:55], -1
	s_mov_b64 s[56:57], 0
	s_and_saveexec_b64 s[52:53], vcc
	s_cbranch_execz .LBB31_49
; %bb.61:                               ;   in Loop: Header=BB31_55 Depth=3
	v_add_u32_e32 v14, 3, v15
	v_and_b32_e32 v14, 0x1ff, v14
	v_lshl_add_u32 v15, v14, 2, v19
	ds_read_b32 v16, v15
	s_mov_b64 s[58:59], -1
	s_mov_b64 s[56:57], -1
                                        ; implicit-def: $vgpr15
	s_waitcnt lgkmcnt(0)
	v_cmp_ne_u32_e32 vcc, -1, v16
	s_and_saveexec_b64 s[54:55], vcc
	s_cbranch_execz .LBB31_48
; %bb.62:                               ;   in Loop: Header=BB31_55 Depth=3
	v_cmp_ne_u32_e32 vcc, v16, v12
	s_mov_b64 s[56:57], 0
                                        ; implicit-def: $vgpr15
	s_and_saveexec_b64 s[60:61], vcc
	s_cbranch_execz .LBB31_47
; %bb.63:                               ;   in Loop: Header=BB31_55 Depth=3
	v_add_u32_e32 v13, -4, v13
	v_cmp_eq_u32_e32 vcc, 0, v13
	s_mov_b64 s[56:57], exec
	v_add_u32_e32 v15, 1, v14
	s_orn2_b64 s[58:59], vcc, exec
	s_branch .LBB31_47
.LBB31_64:                              ;   in Loop: Header=BB31_46 Depth=2
	s_or_b64 exec, exec, s[36:37]
	s_xor_b64 s[30:31], s[30:31], -1
	s_and_saveexec_b64 s[36:37], s[30:31]
	s_xor_b64 s[30:31], exec, s[36:37]
	s_cbranch_execz .LBB31_45
; %bb.65:                               ;   in Loop: Header=BB31_46 Depth=2
	v_lshl_add_u32 v12, v14, 2, v0
	ds_read_b32 v12, v12
	v_lshlrev_b64 v[14:15], 3, v[8:9]
	v_add_co_u32_e32 v14, vcc, s12, v14
	s_waitcnt lgkmcnt(0)
	v_ashrrev_i32_e32 v13, 31, v12
	v_lshlrev_b64 v[12:13], 3, v[12:13]
	v_addc_co_u32_e32 v15, vcc, v22, v15, vcc
	v_add_co_u32_e32 v12, vcc, s12, v12
	v_addc_co_u32_e32 v13, vcc, v22, v13, vcc
	global_load_dwordx2 v[27:28], v[14:15], off
	global_load_dwordx2 v[29:30], v[12:13], off
	s_waitcnt vmcnt(0)
	v_fma_f32 v14, -v10, v27, v29
	v_fma_f32 v9, -v11, v27, v30
	v_fmac_f32_e32 v14, v11, v28
	v_fma_f32 v15, -v10, v28, v9
	global_store_dwordx2 v[12:13], v[14:15], off
	s_branch .LBB31_45
.LBB31_66:
	s_or_b64 exec, exec, s[6:7]
	v_cmp_lt_i32_e32 vcc, -1, v6
	s_and_saveexec_b64 s[6:7], vcc
	s_cbranch_execz .LBB31_88
; %bb.67:
	v_mov_b32_e32 v7, 0
	v_lshlrev_b64 v[8:9], 3, v[6:7]
	v_mov_b32_e32 v0, s13
	v_add_co_u32_e32 v10, vcc, s12, v8
	v_addc_co_u32_e32 v11, vcc, v0, v9, vcc
	global_load_dwordx2 v[8:9], v[10:11], off
	s_waitcnt vmcnt(0)
	v_cmp_gt_f32_e32 vcc, 0, v8
	v_cndmask_b32_e64 v0, v8, -v8, vcc
	v_cmp_gt_f32_e32 vcc, 0, v9
	v_cndmask_b32_e64 v6, v9, -v9, vcc
	v_cmp_ngt_f32_e32 vcc, v0, v6
	s_and_saveexec_b64 s[2:3], vcc
	s_xor_b64 s[8:9], exec, s[2:3]
	s_cbranch_execz .LBB31_71
; %bb.68:
	v_cmp_neq_f32_e32 vcc, 0, v9
	s_and_saveexec_b64 s[10:11], vcc
	s_cbranch_execz .LBB31_70
; %bb.69:
	v_div_scale_f32 v7, s[2:3], v6, v6, v0
	v_div_scale_f32 v12, vcc, v0, v6, v0
	s_mov_b32 s2, 0xf800000
	v_rcp_f32_e32 v13, v7
	v_fma_f32 v14, -v7, v13, 1.0
	v_fmac_f32_e32 v13, v14, v13
	v_mul_f32_e32 v14, v12, v13
	v_fma_f32 v15, -v7, v14, v12
	v_fmac_f32_e32 v14, v15, v13
	v_fma_f32 v7, -v7, v14, v12
	v_div_fmas_f32 v7, v7, v13, v14
	v_mov_b32_e32 v12, 0x260
	v_div_fixup_f32 v0, v7, v6, v0
	v_fma_f32 v0, v0, v0, 1.0
	v_mul_f32_e32 v7, 0x4f800000, v0
	v_cmp_gt_f32_e32 vcc, s2, v0
	v_cndmask_b32_e32 v0, v0, v7, vcc
	v_sqrt_f32_e32 v7, v0
	v_add_u32_e32 v13, -1, v7
	v_add_u32_e32 v14, 1, v7
	v_fma_f32 v15, -v13, v7, v0
	v_fma_f32 v16, -v14, v7, v0
	v_cmp_ge_f32_e64 s[2:3], 0, v15
	v_cndmask_b32_e64 v7, v7, v13, s[2:3]
	v_cmp_lt_f32_e64 s[2:3], 0, v16
	v_cndmask_b32_e64 v7, v7, v14, s[2:3]
	v_mul_f32_e32 v13, 0x37800000, v7
	v_cndmask_b32_e32 v7, v7, v13, vcc
	v_cmp_class_f32_e32 vcc, v0, v12
	v_cndmask_b32_e32 v0, v7, v0, vcc
	v_mul_f32_e32 v7, v6, v0
.LBB31_70:
	s_or_b64 exec, exec, s[10:11]
                                        ; implicit-def: $vgpr0
                                        ; implicit-def: $vgpr6
.LBB31_71:
	s_andn2_saveexec_b64 s[8:9], s[8:9]
	s_cbranch_execz .LBB31_73
; %bb.72:
	v_div_scale_f32 v7, s[2:3], v0, v0, v6
	v_div_scale_f32 v12, vcc, v6, v0, v6
	s_mov_b32 s2, 0xf800000
	v_rcp_f32_e32 v13, v7
	v_fma_f32 v14, -v7, v13, 1.0
	v_fmac_f32_e32 v13, v14, v13
	v_mul_f32_e32 v14, v12, v13
	v_fma_f32 v15, -v7, v14, v12
	v_fmac_f32_e32 v14, v15, v13
	v_fma_f32 v7, -v7, v14, v12
	v_div_fmas_f32 v7, v7, v13, v14
	v_mov_b32_e32 v12, 0x260
	v_div_fixup_f32 v6, v7, v0, v6
	v_fma_f32 v6, v6, v6, 1.0
	v_mul_f32_e32 v7, 0x4f800000, v6
	v_cmp_gt_f32_e32 vcc, s2, v6
	v_cndmask_b32_e32 v6, v6, v7, vcc
	v_sqrt_f32_e32 v7, v6
	v_add_u32_e32 v13, -1, v7
	v_add_u32_e32 v14, 1, v7
	v_fma_f32 v15, -v13, v7, v6
	v_fma_f32 v16, -v14, v7, v6
	v_cmp_ge_f32_e64 s[2:3], 0, v15
	v_cndmask_b32_e64 v7, v7, v13, s[2:3]
	v_cmp_lt_f32_e64 s[2:3], 0, v16
	v_cndmask_b32_e64 v7, v7, v14, s[2:3]
	v_mul_f32_e32 v13, 0x37800000, v7
	v_cndmask_b32_e32 v7, v7, v13, vcc
	v_cmp_class_f32_e32 vcc, v6, v12
	v_cndmask_b32_e32 v6, v7, v6, vcc
	v_mul_f32_e32 v7, v0, v6
.LBB31_73:
	s_or_b64 exec, exec, s[8:9]
	v_cvt_f64_f32_e32 v[6:7], v7
	v_cmp_eq_u32_e64 s[2:3], 0, v17
	s_and_b64 vcc, exec, s[0:1]
	s_mov_b64 s[0:1], -1
	s_cbranch_vccnz .LBB31_77
; %bb.74:
	v_cvt_f64_f32_e32 v[12:13], v18
	s_cmp_eq_u64 s[24:25], 8
	s_cselect_b64 vcc, -1, 0
	v_cndmask_b32_e32 v4, v13, v4, vcc
	v_cndmask_b32_e32 v3, v12, v3, vcc
	v_cmp_ge_f64_e32 vcc, v[3:4], v[6:7]
	s_and_b64 s[8:9], s[2:3], vcc
	s_and_saveexec_b64 s[0:1], s[8:9]
	s_cbranch_execz .LBB31_76
; %bb.75:
	v_mov_b32_e32 v3, s33
	v_mov_b32_e32 v4, s35
	global_store_dwordx2 v[10:11], v[3:4], off
	s_waitcnt vmcnt(0)
	buffer_wbinvl1_vol
.LBB31_76:
	s_or_b64 exec, exec, s[0:1]
	s_mov_b64 s[0:1], 0
.LBB31_77:
	s_andn2_b64 vcc, exec, s[0:1]
	s_cbranch_vccnz .LBB31_88
; %bb.78:
	s_load_dwordx2 s[0:1], s[4:5], 0x48
	v_add_u32_e32 v0, s34, v5
	s_waitcnt lgkmcnt(0)
	v_cmp_ge_f64_e32 vcc, s[0:1], v[6:7]
	s_and_b64 s[4:5], s[2:3], vcc
	s_and_saveexec_b64 s[0:1], s[4:5]
	s_cbranch_execz .LBB31_83
; %bb.79:
	s_mov_b64 s[4:5], exec
	s_brev_b32 s8, -2
.LBB31_80:                              ; =>This Inner Loop Header: Depth=1
	s_ff1_i32_b64 s9, s[4:5]
	v_readlane_b32 s12, v0, s9
	s_lshl_b64 s[10:11], 1, s9
	s_min_i32 s8, s8, s12
	s_andn2_b64 s[4:5], s[4:5], s[10:11]
	s_cmp_lg_u64 s[4:5], 0
	s_cbranch_scc1 .LBB31_80
; %bb.81:
	v_mbcnt_lo_u32_b32 v3, exec_lo, 0
	v_mbcnt_hi_u32_b32 v3, exec_hi, v3
	v_cmp_eq_u32_e32 vcc, 0, v3
	s_and_saveexec_b64 s[4:5], vcc
	s_xor_b64 s[4:5], exec, s[4:5]
	s_cbranch_execz .LBB31_83
; %bb.82:
	v_mov_b32_e32 v3, 0
	v_mov_b32_e32 v4, s8
	global_atomic_smin v3, v4, s[22:23]
.LBB31_83:
	s_or_b64 exec, exec, s[0:1]
	v_cmp_eq_f32_e32 vcc, 0, v8
	v_cmp_eq_f32_e64 s[0:1], 0, v9
	s_and_b64 s[0:1], vcc, s[0:1]
	s_and_b64 s[0:1], s[2:3], s[0:1]
	s_and_b64 exec, exec, s[0:1]
	s_cbranch_execz .LBB31_88
; %bb.84:
	s_mov_b64 s[0:1], exec
	s_brev_b32 s2, -2
.LBB31_85:                              ; =>This Inner Loop Header: Depth=1
	s_ff1_i32_b64 s3, s[0:1]
	v_readlane_b32 s8, v0, s3
	s_lshl_b64 s[4:5], 1, s3
	s_min_i32 s2, s2, s8
	s_andn2_b64 s[0:1], s[0:1], s[4:5]
	s_cmp_lg_u64 s[0:1], 0
	s_cbranch_scc1 .LBB31_85
; %bb.86:
	v_mbcnt_lo_u32_b32 v0, exec_lo, 0
	v_mbcnt_hi_u32_b32 v0, exec_hi, v0
	v_cmp_eq_u32_e32 vcc, 0, v0
	s_and_saveexec_b64 s[0:1], vcc
	s_xor_b64 s[0:1], exec, s[0:1]
	s_cbranch_execz .LBB31_88
; %bb.87:
	v_mov_b32_e32 v0, 0
	v_mov_b32_e32 v3, s2
	global_atomic_smin v0, v3, s[20:21]
.LBB31_88:
	s_or_b64 exec, exec, s[6:7]
	v_cmp_eq_u32_e32 vcc, 0, v17
	s_waitcnt vmcnt(0)
	buffer_wbinvl1_vol
	s_and_b64 exec, exec, vcc
	s_cbranch_execz .LBB31_90
; %bb.89:
	v_mov_b32_e32 v3, s17
	v_add_co_u32_e32 v0, vcc, s16, v1
	v_addc_co_u32_e32 v1, vcc, v3, v2, vcc
	v_mov_b32_e32 v2, 1
	global_store_dword v[0:1], v2, off
.LBB31_90:
	s_endpgm
	.section	.rodata,"a",@progbits
	.p2align	6, 0x0
	.amdhsa_kernel _ZN9rocsparseL12csrilu0_hashILj256ELj32ELj16E21rocsparse_complex_numIfEEEviPKiS4_PT2_S4_PiS4_S7_S7_d21rocsparse_index_base_imNS_24const_host_device_scalarIfEENS9_IdEENS9_IS5_EEb
		.amdhsa_group_segment_fixed_size 32768
		.amdhsa_private_segment_fixed_size 0
		.amdhsa_kernarg_size 124
		.amdhsa_user_sgpr_count 6
		.amdhsa_user_sgpr_private_segment_buffer 1
		.amdhsa_user_sgpr_dispatch_ptr 0
		.amdhsa_user_sgpr_queue_ptr 0
		.amdhsa_user_sgpr_kernarg_segment_ptr 1
		.amdhsa_user_sgpr_dispatch_id 0
		.amdhsa_user_sgpr_flat_scratch_init 0
		.amdhsa_user_sgpr_private_segment_size 0
		.amdhsa_uses_dynamic_stack 0
		.amdhsa_system_sgpr_private_segment_wavefront_offset 0
		.amdhsa_system_sgpr_workgroup_id_x 1
		.amdhsa_system_sgpr_workgroup_id_y 0
		.amdhsa_system_sgpr_workgroup_id_z 0
		.amdhsa_system_sgpr_workgroup_info 0
		.amdhsa_system_vgpr_workitem_id 0
		.amdhsa_next_free_vgpr 85
		.amdhsa_next_free_sgpr 98
		.amdhsa_reserve_vcc 1
		.amdhsa_reserve_flat_scratch 0
		.amdhsa_float_round_mode_32 0
		.amdhsa_float_round_mode_16_64 0
		.amdhsa_float_denorm_mode_32 3
		.amdhsa_float_denorm_mode_16_64 3
		.amdhsa_dx10_clamp 1
		.amdhsa_ieee_mode 1
		.amdhsa_fp16_overflow 0
		.amdhsa_exception_fp_ieee_invalid_op 0
		.amdhsa_exception_fp_denorm_src 0
		.amdhsa_exception_fp_ieee_div_zero 0
		.amdhsa_exception_fp_ieee_overflow 0
		.amdhsa_exception_fp_ieee_underflow 0
		.amdhsa_exception_fp_ieee_inexact 0
		.amdhsa_exception_int_div_zero 0
	.end_amdhsa_kernel
	.section	.text._ZN9rocsparseL12csrilu0_hashILj256ELj32ELj16E21rocsparse_complex_numIfEEEviPKiS4_PT2_S4_PiS4_S7_S7_d21rocsparse_index_base_imNS_24const_host_device_scalarIfEENS9_IdEENS9_IS5_EEb,"axG",@progbits,_ZN9rocsparseL12csrilu0_hashILj256ELj32ELj16E21rocsparse_complex_numIfEEEviPKiS4_PT2_S4_PiS4_S7_S7_d21rocsparse_index_base_imNS_24const_host_device_scalarIfEENS9_IdEENS9_IS5_EEb,comdat
.Lfunc_end31:
	.size	_ZN9rocsparseL12csrilu0_hashILj256ELj32ELj16E21rocsparse_complex_numIfEEEviPKiS4_PT2_S4_PiS4_S7_S7_d21rocsparse_index_base_imNS_24const_host_device_scalarIfEENS9_IdEENS9_IS5_EEb, .Lfunc_end31-_ZN9rocsparseL12csrilu0_hashILj256ELj32ELj16E21rocsparse_complex_numIfEEEviPKiS4_PT2_S4_PiS4_S7_S7_d21rocsparse_index_base_imNS_24const_host_device_scalarIfEENS9_IdEENS9_IS5_EEb
                                        ; -- End function
	.set _ZN9rocsparseL12csrilu0_hashILj256ELj32ELj16E21rocsparse_complex_numIfEEEviPKiS4_PT2_S4_PiS4_S7_S7_d21rocsparse_index_base_imNS_24const_host_device_scalarIfEENS9_IdEENS9_IS5_EEb.num_vgpr, 31
	.set _ZN9rocsparseL12csrilu0_hashILj256ELj32ELj16E21rocsparse_complex_numIfEEEviPKiS4_PT2_S4_PiS4_S7_S7_d21rocsparse_index_base_imNS_24const_host_device_scalarIfEENS9_IdEENS9_IS5_EEb.num_agpr, 0
	.set _ZN9rocsparseL12csrilu0_hashILj256ELj32ELj16E21rocsparse_complex_numIfEEEviPKiS4_PT2_S4_PiS4_S7_S7_d21rocsparse_index_base_imNS_24const_host_device_scalarIfEENS9_IdEENS9_IS5_EEb.numbered_sgpr, 62
	.set _ZN9rocsparseL12csrilu0_hashILj256ELj32ELj16E21rocsparse_complex_numIfEEEviPKiS4_PT2_S4_PiS4_S7_S7_d21rocsparse_index_base_imNS_24const_host_device_scalarIfEENS9_IdEENS9_IS5_EEb.num_named_barrier, 0
	.set _ZN9rocsparseL12csrilu0_hashILj256ELj32ELj16E21rocsparse_complex_numIfEEEviPKiS4_PT2_S4_PiS4_S7_S7_d21rocsparse_index_base_imNS_24const_host_device_scalarIfEENS9_IdEENS9_IS5_EEb.private_seg_size, 0
	.set _ZN9rocsparseL12csrilu0_hashILj256ELj32ELj16E21rocsparse_complex_numIfEEEviPKiS4_PT2_S4_PiS4_S7_S7_d21rocsparse_index_base_imNS_24const_host_device_scalarIfEENS9_IdEENS9_IS5_EEb.uses_vcc, 1
	.set _ZN9rocsparseL12csrilu0_hashILj256ELj32ELj16E21rocsparse_complex_numIfEEEviPKiS4_PT2_S4_PiS4_S7_S7_d21rocsparse_index_base_imNS_24const_host_device_scalarIfEENS9_IdEENS9_IS5_EEb.uses_flat_scratch, 0
	.set _ZN9rocsparseL12csrilu0_hashILj256ELj32ELj16E21rocsparse_complex_numIfEEEviPKiS4_PT2_S4_PiS4_S7_S7_d21rocsparse_index_base_imNS_24const_host_device_scalarIfEENS9_IdEENS9_IS5_EEb.has_dyn_sized_stack, 0
	.set _ZN9rocsparseL12csrilu0_hashILj256ELj32ELj16E21rocsparse_complex_numIfEEEviPKiS4_PT2_S4_PiS4_S7_S7_d21rocsparse_index_base_imNS_24const_host_device_scalarIfEENS9_IdEENS9_IS5_EEb.has_recursion, 0
	.set _ZN9rocsparseL12csrilu0_hashILj256ELj32ELj16E21rocsparse_complex_numIfEEEviPKiS4_PT2_S4_PiS4_S7_S7_d21rocsparse_index_base_imNS_24const_host_device_scalarIfEENS9_IdEENS9_IS5_EEb.has_indirect_call, 0
	.section	.AMDGPU.csdata,"",@progbits
; Kernel info:
; codeLenInByte = 3164
; TotalNumSgprs: 66
; NumVgprs: 31
; ScratchSize: 0
; MemoryBound: 0
; FloatMode: 240
; IeeeMode: 1
; LDSByteSize: 32768 bytes/workgroup (compile time only)
; SGPRBlocks: 12
; VGPRBlocks: 21
; NumSGPRsForWavesPerEU: 102
; NumVGPRsForWavesPerEU: 85
; Occupancy: 2
; WaveLimiterHint : 1
; COMPUTE_PGM_RSRC2:SCRATCH_EN: 0
; COMPUTE_PGM_RSRC2:USER_SGPR: 6
; COMPUTE_PGM_RSRC2:TRAP_HANDLER: 0
; COMPUTE_PGM_RSRC2:TGID_X_EN: 1
; COMPUTE_PGM_RSRC2:TGID_Y_EN: 0
; COMPUTE_PGM_RSRC2:TGID_Z_EN: 0
; COMPUTE_PGM_RSRC2:TIDIG_COMP_CNT: 0
	.section	.text._ZN9rocsparseL17csrilu0_binsearchILj256ELj32ELb0E21rocsparse_complex_numIfEEEviPKiS4_PT2_S4_PiS4_S7_S7_d21rocsparse_index_base_imNS_24const_host_device_scalarIfEENS9_IdEENS9_IS5_EEb,"axG",@progbits,_ZN9rocsparseL17csrilu0_binsearchILj256ELj32ELb0E21rocsparse_complex_numIfEEEviPKiS4_PT2_S4_PiS4_S7_S7_d21rocsparse_index_base_imNS_24const_host_device_scalarIfEENS9_IdEENS9_IS5_EEb,comdat
	.globl	_ZN9rocsparseL17csrilu0_binsearchILj256ELj32ELb0E21rocsparse_complex_numIfEEEviPKiS4_PT2_S4_PiS4_S7_S7_d21rocsparse_index_base_imNS_24const_host_device_scalarIfEENS9_IdEENS9_IS5_EEb ; -- Begin function _ZN9rocsparseL17csrilu0_binsearchILj256ELj32ELb0E21rocsparse_complex_numIfEEEviPKiS4_PT2_S4_PiS4_S7_S7_d21rocsparse_index_base_imNS_24const_host_device_scalarIfEENS9_IdEENS9_IS5_EEb
	.p2align	8
	.type	_ZN9rocsparseL17csrilu0_binsearchILj256ELj32ELb0E21rocsparse_complex_numIfEEEviPKiS4_PT2_S4_PiS4_S7_S7_d21rocsparse_index_base_imNS_24const_host_device_scalarIfEENS9_IdEENS9_IS5_EEb,@function
_ZN9rocsparseL17csrilu0_binsearchILj256ELj32ELb0E21rocsparse_complex_numIfEEEviPKiS4_PT2_S4_PiS4_S7_S7_d21rocsparse_index_base_imNS_24const_host_device_scalarIfEENS9_IdEENS9_IS5_EEb: ; @_ZN9rocsparseL17csrilu0_binsearchILj256ELj32ELb0E21rocsparse_complex_numIfEEEviPKiS4_PT2_S4_PiS4_S7_S7_d21rocsparse_index_base_imNS_24const_host_device_scalarIfEENS9_IdEENS9_IS5_EEb
; %bb.0:
	s_load_dword s0, s[4:5], 0x78
	s_load_dwordx2 s[34:35], s[4:5], 0x50
	s_load_dwordx8 s[24:31], s[4:5], 0x58
	s_waitcnt lgkmcnt(0)
	s_bitcmp1_b32 s0, 0
	s_cselect_b64 s[2:3], -1, 0
	s_cmp_eq_u32 s35, 0
	s_cselect_b64 s[12:13], -1, 0
	s_cmp_lg_u32 s35, 0
	s_cselect_b64 s[8:9], -1, 0
	s_or_b64 s[14:15], s[12:13], s[2:3]
	s_xor_b64 s[0:1], s[14:15], -1
	s_and_b64 s[10:11], s[12:13], exec
	s_cselect_b32 s11, 0, s29
	s_cselect_b32 s10, 0, s28
	s_and_b64 vcc, exec, s[14:15]
	s_cbranch_vccnz .LBB32_2
; %bb.1:
	s_load_dword s7, s[26:27], 0x0
	s_mov_b64 s[10:11], s[28:29]
	s_waitcnt lgkmcnt(0)
	v_mov_b32_e32 v17, s7
	v_mov_b32_e32 v3, s10
	s_andn2_b64 vcc, exec, s[0:1]
	v_mov_b32_e32 v4, s11
	s_cbranch_vccz .LBB32_3
	s_branch .LBB32_4
.LBB32_2:
	v_mov_b32_e32 v1, s26
	v_cndmask_b32_e64 v17, v1, 0, s[12:13]
	v_mov_b32_e32 v3, s10
	s_andn2_b64 vcc, exec, s[0:1]
	v_mov_b32_e32 v4, s11
	s_cbranch_vccnz .LBB32_4
.LBB32_3:
	v_mov_b32_e32 v1, s28
	v_mov_b32_e32 v2, s29
	flat_load_dwordx2 v[3:4], v[1:2]
.LBB32_4:
	v_cndmask_b32_e64 v1, 0, 1, s[8:9]
	s_mov_b32 s33, 0
	v_cmp_ne_u32_e64 s[0:1], 1, v1
	s_andn2_b64 vcc, exec, s[8:9]
	s_mov_b32 s35, 0
	s_cbranch_vccnz .LBB32_10
; %bb.5:
	s_xor_b64 s[8:9], s[2:3], -1
	v_cndmask_b32_e64 v1, 0, 1, s[8:9]
	v_cmp_ne_u32_e64 s[2:3], 1, v1
	s_andn2_b64 vcc, exec, s[8:9]
	s_mov_b32 s33, s30
	s_cbranch_vccnz .LBB32_7
; %bb.6:
	s_load_dword s33, s[30:31], 0x0
.LBB32_7:
	s_and_b64 vcc, exec, s[2:3]
	s_cbranch_vccnz .LBB32_9
; %bb.8:
	s_load_dword s31, s[30:31], 0x4
.LBB32_9:
	s_waitcnt lgkmcnt(0)
	s_mov_b32 s35, s31
.LBB32_10:
	s_load_dword s2, s[4:5], 0x0
	s_lshl_b32 s3, s6, 3
	v_lshrrev_b32_e32 v1, 5, v0
	s_and_b32 s3, s3, 0x7fffff8
	v_or_b32_e32 v1, s3, v1
	s_waitcnt lgkmcnt(0)
	v_cmp_gt_i32_e32 vcc, s2, v1
	s_and_saveexec_b64 s[2:3], vcc
	s_cbranch_execz .LBB32_52
; %bb.11:
	s_load_dwordx16 s[8:23], s[4:5], 0x8
	v_lshlrev_b32_e32 v1, 2, v1
	v_and_b32_e32 v0, 31, v0
	s_waitcnt lgkmcnt(0)
	global_load_dword v5, v1, s[18:19]
	v_mov_b32_e32 v7, s15
	v_mov_b32_e32 v9, s9
	s_waitcnt vmcnt(0)
	v_ashrrev_i32_e32 v6, 31, v5
	v_lshlrev_b64 v[1:2], 2, v[5:6]
	v_add_co_u32_e32 v10, vcc, s14, v1
	v_addc_co_u32_e32 v11, vcc, v7, v2, vcc
	v_add_co_u32_e32 v8, vcc, s8, v1
	v_addc_co_u32_e32 v9, vcc, v9, v2, vcc
	global_load_dword v7, v[8:9], off
	global_load_dword v6, v[10:11], off
	s_waitcnt vmcnt(1)
	v_subrev_u32_e32 v7, s34, v7
	s_waitcnt vmcnt(0)
	v_cmp_lt_i32_e32 vcc, v7, v6
	s_and_saveexec_b64 s[6:7], vcc
	s_cbranch_execz .LBB32_28
; %bb.12:
	global_load_dword v8, v[8:9], off offset:4
	v_add_u32_e32 v18, 1, v0
	s_mov_b64 s[18:19], 0
	v_mov_b32_e32 v19, s11
	v_mov_b32_e32 v20, s13
	;; [unrolled: 1-line block ×5, first 2 shown]
	s_waitcnt vmcnt(0)
	v_xad_u32 v23, s34, -1, v8
	s_branch .LBB32_15
.LBB32_13:                              ;   in Loop: Header=BB32_15 Depth=1
	s_or_b64 exec, exec, s[26:27]
	v_cmp_ge_i32_e32 vcc, v7, v6
	s_orn2_b64 s[26:27], vcc, exec
.LBB32_14:                              ;   in Loop: Header=BB32_15 Depth=1
	s_or_b64 exec, exec, s[2:3]
	s_and_b64 s[2:3], exec, s[26:27]
	s_or_b64 s[18:19], s[2:3], s[18:19]
	s_andn2_b64 exec, exec, s[18:19]
	s_cbranch_execz .LBB32_28
.LBB32_15:                              ; =>This Loop Header: Depth=1
                                        ;     Child Loop BB32_17 Depth 2
                                        ;     Child Loop BB32_22 Depth 2
                                        ;       Child Loop BB32_24 Depth 3
	v_ashrrev_i32_e32 v8, 31, v7
	v_lshlrev_b64 v[9:10], 2, v[7:8]
	v_add_co_u32_e32 v9, vcc, s10, v9
	v_addc_co_u32_e32 v10, vcc, v19, v10, vcc
	global_load_dword v11, v[9:10], off
	v_lshlrev_b64 v[8:9], 3, v[7:8]
	v_add_co_u32_e32 v12, vcc, s12, v8
	v_addc_co_u32_e32 v13, vcc, v20, v9, vcc
	global_load_dwordx2 v[9:10], v[12:13], off
	s_waitcnt vmcnt(1)
	v_subrev_u32_e32 v14, s34, v11
	v_ashrrev_i32_e32 v15, 31, v14
	v_lshlrev_b64 v[14:15], 2, v[14:15]
	v_add_co_u32_e32 v25, vcc, s8, v14
	v_addc_co_u32_e32 v26, vcc, v21, v15, vcc
	v_add_co_u32_e32 v27, vcc, s14, v14
	v_addc_co_u32_e32 v28, vcc, v22, v15, vcc
	;; [unrolled: 2-line block ×3, first 2 shown]
	global_load_dword v11, v[25:26], off offset:4
	global_load_dword v8, v[27:28], off
	global_load_dword v16, v[14:15], off glc
	s_waitcnt vmcnt(0)
	v_cmp_eq_u32_e32 vcc, 0, v16
	s_and_saveexec_b64 s[2:3], vcc
	s_cbranch_execz .LBB32_18
; %bb.16:                               ;   in Loop: Header=BB32_15 Depth=1
	s_mov_b64 s[26:27], 0
.LBB32_17:                              ;   Parent Loop BB32_15 Depth=1
                                        ; =>  This Inner Loop Header: Depth=2
	global_load_dword v16, v[14:15], off glc
	s_waitcnt vmcnt(0)
	v_cmp_ne_u32_e32 vcc, 0, v16
	s_or_b64 s[26:27], vcc, s[26:27]
	s_andn2_b64 exec, exec, s[26:27]
	s_cbranch_execnz .LBB32_17
.LBB32_18:                              ;   in Loop: Header=BB32_15 Depth=1
	s_or_b64 exec, exec, s[2:3]
	v_subrev_u32_e32 v25, s34, v11
	v_add_u32_e32 v11, -1, v25
	v_cmp_eq_u32_e32 vcc, -1, v8
	v_cndmask_b32_e32 v14, v8, v11, vcc
	v_ashrrev_i32_e32 v15, 31, v14
	v_lshlrev_b64 v[15:16], 3, v[14:15]
	v_mov_b32_e32 v8, s13
	v_add_co_u32_e32 v15, vcc, s12, v15
	v_addc_co_u32_e32 v16, vcc, v8, v16, vcc
	buffer_wbinvl1_vol
	global_load_dwordx2 v[15:16], v[15:16], off
	s_mov_b64 s[26:27], -1
	s_waitcnt vmcnt(0)
	v_cmp_neq_f32_e32 vcc, 0, v15
	v_cmp_neq_f32_e64 s[2:3], 0, v16
	s_or_b64 s[2:3], vcc, s[2:3]
	s_and_saveexec_b64 s[28:29], s[2:3]
	s_xor_b64 s[2:3], exec, s[28:29]
	s_cbranch_execz .LBB32_14
; %bb.19:                               ;   in Loop: Header=BB32_15 Depth=1
	v_mul_f32_e32 v11, v16, v16
	v_fmac_f32_e32 v11, v15, v15
	v_div_scale_f32 v8, s[26:27], v11, v11, 1.0
	v_div_scale_f32 v26, vcc, 1.0, v11, 1.0
	v_add_u32_e32 v7, 1, v7
	v_rcp_f32_e32 v27, v8
	v_fma_f32 v28, -v8, v27, 1.0
	v_fmac_f32_e32 v27, v28, v27
	v_mul_f32_e32 v28, v26, v27
	v_fma_f32 v29, -v8, v28, v26
	v_fmac_f32_e32 v28, v29, v27
	v_fma_f32 v8, -v8, v28, v26
	v_div_fmas_f32 v26, v8, v27, v28
	v_mul_f32_e32 v27, v10, v16
	v_mul_f32_e64 v16, v16, -v9
	v_add_u32_e32 v8, v18, v14
	v_fmac_f32_e32 v27, v9, v15
	v_fmac_f32_e32 v16, v10, v15
	v_cmp_lt_i32_e32 vcc, v8, v25
	v_div_fixup_f32 v9, v26, v11, 1.0
	v_mul_f32_e32 v10, v27, v9
	v_mul_f32_e32 v11, v16, v9
	global_store_dwordx2 v[12:13], v[10:11], off
	s_and_saveexec_b64 s[26:27], vcc
	s_cbranch_execz .LBB32_13
; %bb.20:                               ;   in Loop: Header=BB32_15 Depth=1
	s_mov_b64 s[28:29], 0
	v_mov_b32_e32 v12, v7
	s_branch .LBB32_22
.LBB32_21:                              ;   in Loop: Header=BB32_22 Depth=2
	s_or_b64 exec, exec, s[30:31]
	v_add_u32_e32 v8, 32, v8
	v_cmp_ge_i32_e32 vcc, v8, v25
	s_or_b64 s[28:29], vcc, s[28:29]
	s_andn2_b64 exec, exec, s[28:29]
	s_cbranch_execz .LBB32_13
.LBB32_22:                              ;   Parent Loop BB32_15 Depth=1
                                        ; =>  This Loop Header: Depth=2
                                        ;       Child Loop BB32_24 Depth 3
	v_ashrrev_i32_e32 v9, 31, v8
	v_lshlrev_b64 v[13:14], 2, v[8:9]
	v_add_u32_e32 v15, v12, v23
	v_mov_b32_e32 v16, s11
	v_add_co_u32_e32 v26, vcc, s10, v13
	v_ashrrev_i32_e32 v13, 1, v15
	v_addc_co_u32_e32 v27, vcc, v16, v14, vcc
	v_ashrrev_i32_e32 v14, 31, v13
	v_lshlrev_b64 v[14:15], 2, v[13:14]
	v_add_co_u32_e32 v28, vcc, s10, v14
	v_addc_co_u32_e32 v29, vcc, v16, v15, vcc
	global_load_dword v15, v[26:27], off
	global_load_dword v14, v[28:29], off
	v_cmp_lt_i32_e32 vcc, v12, v23
	s_and_saveexec_b64 s[30:31], vcc
	s_cbranch_execz .LBB32_26
; %bb.23:                               ;   in Loop: Header=BB32_22 Depth=2
	s_mov_b64 s[36:37], 0
	v_mov_b32_e32 v16, v23
.LBB32_24:                              ;   Parent Loop BB32_15 Depth=1
                                        ;     Parent Loop BB32_22 Depth=2
                                        ; =>    This Inner Loop Header: Depth=3
	v_add_u32_e32 v26, 1, v13
	s_waitcnt vmcnt(0)
	v_cmp_lt_i32_e32 vcc, v14, v15
	v_cndmask_b32_e32 v16, v13, v16, vcc
	v_cndmask_b32_e32 v12, v12, v26, vcc
	v_add_u32_e32 v13, v16, v12
	v_ashrrev_i32_e32 v13, 1, v13
	v_ashrrev_i32_e32 v14, 31, v13
	v_lshlrev_b64 v[26:27], 2, v[13:14]
	v_mov_b32_e32 v14, s11
	v_add_co_u32_e32 v26, vcc, s10, v26
	v_addc_co_u32_e32 v27, vcc, v14, v27, vcc
	global_load_dword v14, v[26:27], off
	v_cmp_ge_i32_e32 vcc, v12, v16
	s_or_b64 s[36:37], vcc, s[36:37]
	s_andn2_b64 exec, exec, s[36:37]
	s_cbranch_execnz .LBB32_24
; %bb.25:                               ;   in Loop: Header=BB32_22 Depth=2
	s_or_b64 exec, exec, s[36:37]
.LBB32_26:                              ;   in Loop: Header=BB32_22 Depth=2
	s_or_b64 exec, exec, s[30:31]
	s_waitcnt vmcnt(0)
	v_cmp_eq_u32_e32 vcc, v14, v15
	s_and_saveexec_b64 s[30:31], vcc
	s_cbranch_execz .LBB32_21
; %bb.27:                               ;   in Loop: Header=BB32_22 Depth=2
	v_lshlrev_b64 v[13:14], 3, v[8:9]
	v_mov_b32_e32 v9, s13
	v_add_co_u32_e32 v15, vcc, s12, v13
	v_ashrrev_i32_e32 v13, 31, v12
	v_addc_co_u32_e32 v16, vcc, v9, v14, vcc
	v_lshlrev_b64 v[13:14], 3, v[12:13]
	v_add_co_u32_e32 v13, vcc, s12, v13
	v_addc_co_u32_e32 v14, vcc, v9, v14, vcc
	global_load_dwordx2 v[26:27], v[15:16], off
	global_load_dwordx2 v[28:29], v[13:14], off
	s_waitcnt vmcnt(0)
	v_fma_f32 v15, -v10, v26, v28
	v_fma_f32 v9, -v11, v26, v29
	v_fmac_f32_e32 v15, v11, v27
	v_fma_f32 v16, -v10, v27, v9
	global_store_dwordx2 v[13:14], v[15:16], off
	s_branch .LBB32_21
.LBB32_28:
	s_or_b64 exec, exec, s[6:7]
	v_cmp_lt_i32_e32 vcc, -1, v6
	s_and_saveexec_b64 s[6:7], vcc
	s_cbranch_execz .LBB32_50
; %bb.29:
	v_mov_b32_e32 v7, 0
	v_lshlrev_b64 v[8:9], 3, v[6:7]
	v_mov_b32_e32 v6, s13
	v_add_co_u32_e32 v10, vcc, s12, v8
	v_addc_co_u32_e32 v11, vcc, v6, v9, vcc
	global_load_dwordx2 v[8:9], v[10:11], off
	s_waitcnt vmcnt(0)
	v_cmp_gt_f32_e32 vcc, 0, v8
	v_cndmask_b32_e64 v6, v8, -v8, vcc
	v_cmp_gt_f32_e32 vcc, 0, v9
	v_cndmask_b32_e64 v12, v9, -v9, vcc
	v_cmp_ngt_f32_e32 vcc, v6, v12
	s_and_saveexec_b64 s[2:3], vcc
	s_xor_b64 s[8:9], exec, s[2:3]
	s_cbranch_execz .LBB32_33
; %bb.30:
	v_cmp_neq_f32_e32 vcc, 0, v9
	s_and_saveexec_b64 s[10:11], vcc
	s_cbranch_execz .LBB32_32
; %bb.31:
	v_div_scale_f32 v7, s[2:3], v12, v12, v6
	v_div_scale_f32 v13, vcc, v6, v12, v6
	s_mov_b32 s2, 0xf800000
	v_rcp_f32_e32 v14, v7
	v_fma_f32 v15, -v7, v14, 1.0
	v_fmac_f32_e32 v14, v15, v14
	v_mul_f32_e32 v15, v13, v14
	v_fma_f32 v16, -v7, v15, v13
	v_fmac_f32_e32 v15, v16, v14
	v_fma_f32 v7, -v7, v15, v13
	v_div_fmas_f32 v7, v7, v14, v15
	v_mov_b32_e32 v13, 0x260
	v_div_fixup_f32 v6, v7, v12, v6
	v_fma_f32 v6, v6, v6, 1.0
	v_mul_f32_e32 v7, 0x4f800000, v6
	v_cmp_gt_f32_e32 vcc, s2, v6
	v_cndmask_b32_e32 v6, v6, v7, vcc
	v_sqrt_f32_e32 v7, v6
	v_add_u32_e32 v14, -1, v7
	v_add_u32_e32 v15, 1, v7
	v_fma_f32 v16, -v14, v7, v6
	v_fma_f32 v18, -v15, v7, v6
	v_cmp_ge_f32_e64 s[2:3], 0, v16
	v_cndmask_b32_e64 v7, v7, v14, s[2:3]
	v_cmp_lt_f32_e64 s[2:3], 0, v18
	v_cndmask_b32_e64 v7, v7, v15, s[2:3]
	v_mul_f32_e32 v14, 0x37800000, v7
	v_cndmask_b32_e32 v7, v7, v14, vcc
	v_cmp_class_f32_e32 vcc, v6, v13
	v_cndmask_b32_e32 v6, v7, v6, vcc
	v_mul_f32_e32 v7, v12, v6
.LBB32_32:
	s_or_b64 exec, exec, s[10:11]
                                        ; implicit-def: $vgpr6
                                        ; implicit-def: $vgpr12
.LBB32_33:
	s_andn2_saveexec_b64 s[8:9], s[8:9]
	s_cbranch_execz .LBB32_35
; %bb.34:
	v_div_scale_f32 v7, s[2:3], v6, v6, v12
	v_div_scale_f32 v13, vcc, v12, v6, v12
	s_mov_b32 s2, 0xf800000
	v_rcp_f32_e32 v14, v7
	v_fma_f32 v15, -v7, v14, 1.0
	v_fmac_f32_e32 v14, v15, v14
	v_mul_f32_e32 v15, v13, v14
	v_fma_f32 v16, -v7, v15, v13
	v_fmac_f32_e32 v15, v16, v14
	v_fma_f32 v7, -v7, v15, v13
	v_div_fmas_f32 v7, v7, v14, v15
	v_mov_b32_e32 v13, 0x260
	v_div_fixup_f32 v7, v7, v6, v12
	v_fma_f32 v7, v7, v7, 1.0
	v_mul_f32_e32 v12, 0x4f800000, v7
	v_cmp_gt_f32_e32 vcc, s2, v7
	v_cndmask_b32_e32 v7, v7, v12, vcc
	v_sqrt_f32_e32 v12, v7
	v_add_u32_e32 v14, -1, v12
	v_add_u32_e32 v15, 1, v12
	v_fma_f32 v16, -v14, v12, v7
	v_fma_f32 v18, -v15, v12, v7
	v_cmp_ge_f32_e64 s[2:3], 0, v16
	v_cndmask_b32_e64 v12, v12, v14, s[2:3]
	v_cmp_lt_f32_e64 s[2:3], 0, v18
	v_cndmask_b32_e64 v12, v12, v15, s[2:3]
	v_mul_f32_e32 v14, 0x37800000, v12
	v_cndmask_b32_e32 v12, v12, v14, vcc
	v_cmp_class_f32_e32 vcc, v7, v13
	v_cndmask_b32_e32 v7, v12, v7, vcc
	v_mul_f32_e32 v7, v6, v7
.LBB32_35:
	s_or_b64 exec, exec, s[8:9]
	v_cvt_f64_f32_e32 v[6:7], v7
	v_cmp_eq_u32_e64 s[2:3], 0, v0
	s_and_b64 vcc, exec, s[0:1]
	s_mov_b64 s[0:1], -1
	s_cbranch_vccnz .LBB32_39
; %bb.36:
	v_cvt_f64_f32_e32 v[12:13], v17
	s_cmp_eq_u64 s[24:25], 8
	s_cselect_b64 vcc, -1, 0
	v_cndmask_b32_e32 v4, v13, v4, vcc
	v_cndmask_b32_e32 v3, v12, v3, vcc
	v_cmp_ge_f64_e32 vcc, v[3:4], v[6:7]
	s_and_b64 s[8:9], s[2:3], vcc
	s_and_saveexec_b64 s[0:1], s[8:9]
	s_cbranch_execz .LBB32_38
; %bb.37:
	v_mov_b32_e32 v3, s33
	v_mov_b32_e32 v4, s35
	global_store_dwordx2 v[10:11], v[3:4], off
.LBB32_38:
	s_or_b64 exec, exec, s[0:1]
	s_mov_b64 s[0:1], 0
.LBB32_39:
	s_andn2_b64 vcc, exec, s[0:1]
	s_cbranch_vccnz .LBB32_50
; %bb.40:
	s_load_dwordx2 s[0:1], s[4:5], 0x48
	v_add_u32_e32 v3, s34, v5
	s_waitcnt lgkmcnt(0)
	v_cmp_ge_f64_e32 vcc, s[0:1], v[6:7]
	s_and_b64 s[4:5], s[2:3], vcc
	s_and_saveexec_b64 s[0:1], s[4:5]
	s_cbranch_execz .LBB32_45
; %bb.41:
	s_mov_b64 s[4:5], exec
	s_brev_b32 s8, -2
.LBB32_42:                              ; =>This Inner Loop Header: Depth=1
	s_ff1_i32_b64 s9, s[4:5]
	v_readlane_b32 s12, v3, s9
	s_lshl_b64 s[10:11], 1, s9
	s_min_i32 s8, s8, s12
	s_andn2_b64 s[4:5], s[4:5], s[10:11]
	s_cmp_lg_u64 s[4:5], 0
	s_cbranch_scc1 .LBB32_42
; %bb.43:
	v_mbcnt_lo_u32_b32 v4, exec_lo, 0
	v_mbcnt_hi_u32_b32 v4, exec_hi, v4
	v_cmp_eq_u32_e32 vcc, 0, v4
	s_and_saveexec_b64 s[4:5], vcc
	s_xor_b64 s[4:5], exec, s[4:5]
	s_cbranch_execz .LBB32_45
; %bb.44:
	v_mov_b32_e32 v4, 0
	v_mov_b32_e32 v5, s8
	global_atomic_smin v4, v5, s[22:23]
.LBB32_45:
	s_or_b64 exec, exec, s[0:1]
	v_cmp_eq_f32_e32 vcc, 0, v8
	v_cmp_eq_f32_e64 s[0:1], 0, v9
	s_and_b64 s[0:1], vcc, s[0:1]
	s_and_b64 s[0:1], s[2:3], s[0:1]
	s_and_b64 exec, exec, s[0:1]
	s_cbranch_execz .LBB32_50
; %bb.46:
	s_mov_b64 s[0:1], exec
	s_brev_b32 s2, -2
.LBB32_47:                              ; =>This Inner Loop Header: Depth=1
	s_ff1_i32_b64 s3, s[0:1]
	v_readlane_b32 s8, v3, s3
	s_lshl_b64 s[4:5], 1, s3
	s_min_i32 s2, s2, s8
	s_andn2_b64 s[0:1], s[0:1], s[4:5]
	s_cmp_lg_u64 s[0:1], 0
	s_cbranch_scc1 .LBB32_47
; %bb.48:
	v_mbcnt_lo_u32_b32 v3, exec_lo, 0
	v_mbcnt_hi_u32_b32 v3, exec_hi, v3
	v_cmp_eq_u32_e32 vcc, 0, v3
	s_and_saveexec_b64 s[0:1], vcc
	s_xor_b64 s[0:1], exec, s[0:1]
	s_cbranch_execz .LBB32_50
; %bb.49:
	v_mov_b32_e32 v3, 0
	v_mov_b32_e32 v4, s2
	global_atomic_smin v3, v4, s[20:21]
.LBB32_50:
	s_or_b64 exec, exec, s[6:7]
	v_cmp_eq_u32_e32 vcc, 0, v0
	s_waitcnt vmcnt(0)
	buffer_wbinvl1_vol
	s_and_b64 exec, exec, vcc
	s_cbranch_execz .LBB32_52
; %bb.51:
	v_mov_b32_e32 v3, s17
	v_add_co_u32_e32 v0, vcc, s16, v1
	v_addc_co_u32_e32 v1, vcc, v3, v2, vcc
	v_mov_b32_e32 v2, 1
	global_store_dword v[0:1], v2, off
.LBB32_52:
	s_endpgm
	.section	.rodata,"a",@progbits
	.p2align	6, 0x0
	.amdhsa_kernel _ZN9rocsparseL17csrilu0_binsearchILj256ELj32ELb0E21rocsparse_complex_numIfEEEviPKiS4_PT2_S4_PiS4_S7_S7_d21rocsparse_index_base_imNS_24const_host_device_scalarIfEENS9_IdEENS9_IS5_EEb
		.amdhsa_group_segment_fixed_size 0
		.amdhsa_private_segment_fixed_size 0
		.amdhsa_kernarg_size 124
		.amdhsa_user_sgpr_count 6
		.amdhsa_user_sgpr_private_segment_buffer 1
		.amdhsa_user_sgpr_dispatch_ptr 0
		.amdhsa_user_sgpr_queue_ptr 0
		.amdhsa_user_sgpr_kernarg_segment_ptr 1
		.amdhsa_user_sgpr_dispatch_id 0
		.amdhsa_user_sgpr_flat_scratch_init 0
		.amdhsa_user_sgpr_private_segment_size 0
		.amdhsa_uses_dynamic_stack 0
		.amdhsa_system_sgpr_private_segment_wavefront_offset 0
		.amdhsa_system_sgpr_workgroup_id_x 1
		.amdhsa_system_sgpr_workgroup_id_y 0
		.amdhsa_system_sgpr_workgroup_id_z 0
		.amdhsa_system_sgpr_workgroup_info 0
		.amdhsa_system_vgpr_workitem_id 0
		.amdhsa_next_free_vgpr 30
		.amdhsa_next_free_sgpr 38
		.amdhsa_reserve_vcc 1
		.amdhsa_reserve_flat_scratch 0
		.amdhsa_float_round_mode_32 0
		.amdhsa_float_round_mode_16_64 0
		.amdhsa_float_denorm_mode_32 3
		.amdhsa_float_denorm_mode_16_64 3
		.amdhsa_dx10_clamp 1
		.amdhsa_ieee_mode 1
		.amdhsa_fp16_overflow 0
		.amdhsa_exception_fp_ieee_invalid_op 0
		.amdhsa_exception_fp_denorm_src 0
		.amdhsa_exception_fp_ieee_div_zero 0
		.amdhsa_exception_fp_ieee_overflow 0
		.amdhsa_exception_fp_ieee_underflow 0
		.amdhsa_exception_fp_ieee_inexact 0
		.amdhsa_exception_int_div_zero 0
	.end_amdhsa_kernel
	.section	.text._ZN9rocsparseL17csrilu0_binsearchILj256ELj32ELb0E21rocsparse_complex_numIfEEEviPKiS4_PT2_S4_PiS4_S7_S7_d21rocsparse_index_base_imNS_24const_host_device_scalarIfEENS9_IdEENS9_IS5_EEb,"axG",@progbits,_ZN9rocsparseL17csrilu0_binsearchILj256ELj32ELb0E21rocsparse_complex_numIfEEEviPKiS4_PT2_S4_PiS4_S7_S7_d21rocsparse_index_base_imNS_24const_host_device_scalarIfEENS9_IdEENS9_IS5_EEb,comdat
.Lfunc_end32:
	.size	_ZN9rocsparseL17csrilu0_binsearchILj256ELj32ELb0E21rocsparse_complex_numIfEEEviPKiS4_PT2_S4_PiS4_S7_S7_d21rocsparse_index_base_imNS_24const_host_device_scalarIfEENS9_IdEENS9_IS5_EEb, .Lfunc_end32-_ZN9rocsparseL17csrilu0_binsearchILj256ELj32ELb0E21rocsparse_complex_numIfEEEviPKiS4_PT2_S4_PiS4_S7_S7_d21rocsparse_index_base_imNS_24const_host_device_scalarIfEENS9_IdEENS9_IS5_EEb
                                        ; -- End function
	.set _ZN9rocsparseL17csrilu0_binsearchILj256ELj32ELb0E21rocsparse_complex_numIfEEEviPKiS4_PT2_S4_PiS4_S7_S7_d21rocsparse_index_base_imNS_24const_host_device_scalarIfEENS9_IdEENS9_IS5_EEb.num_vgpr, 30
	.set _ZN9rocsparseL17csrilu0_binsearchILj256ELj32ELb0E21rocsparse_complex_numIfEEEviPKiS4_PT2_S4_PiS4_S7_S7_d21rocsparse_index_base_imNS_24const_host_device_scalarIfEENS9_IdEENS9_IS5_EEb.num_agpr, 0
	.set _ZN9rocsparseL17csrilu0_binsearchILj256ELj32ELb0E21rocsparse_complex_numIfEEEviPKiS4_PT2_S4_PiS4_S7_S7_d21rocsparse_index_base_imNS_24const_host_device_scalarIfEENS9_IdEENS9_IS5_EEb.numbered_sgpr, 38
	.set _ZN9rocsparseL17csrilu0_binsearchILj256ELj32ELb0E21rocsparse_complex_numIfEEEviPKiS4_PT2_S4_PiS4_S7_S7_d21rocsparse_index_base_imNS_24const_host_device_scalarIfEENS9_IdEENS9_IS5_EEb.num_named_barrier, 0
	.set _ZN9rocsparseL17csrilu0_binsearchILj256ELj32ELb0E21rocsparse_complex_numIfEEEviPKiS4_PT2_S4_PiS4_S7_S7_d21rocsparse_index_base_imNS_24const_host_device_scalarIfEENS9_IdEENS9_IS5_EEb.private_seg_size, 0
	.set _ZN9rocsparseL17csrilu0_binsearchILj256ELj32ELb0E21rocsparse_complex_numIfEEEviPKiS4_PT2_S4_PiS4_S7_S7_d21rocsparse_index_base_imNS_24const_host_device_scalarIfEENS9_IdEENS9_IS5_EEb.uses_vcc, 1
	.set _ZN9rocsparseL17csrilu0_binsearchILj256ELj32ELb0E21rocsparse_complex_numIfEEEviPKiS4_PT2_S4_PiS4_S7_S7_d21rocsparse_index_base_imNS_24const_host_device_scalarIfEENS9_IdEENS9_IS5_EEb.uses_flat_scratch, 0
	.set _ZN9rocsparseL17csrilu0_binsearchILj256ELj32ELb0E21rocsparse_complex_numIfEEEviPKiS4_PT2_S4_PiS4_S7_S7_d21rocsparse_index_base_imNS_24const_host_device_scalarIfEENS9_IdEENS9_IS5_EEb.has_dyn_sized_stack, 0
	.set _ZN9rocsparseL17csrilu0_binsearchILj256ELj32ELb0E21rocsparse_complex_numIfEEEviPKiS4_PT2_S4_PiS4_S7_S7_d21rocsparse_index_base_imNS_24const_host_device_scalarIfEENS9_IdEENS9_IS5_EEb.has_recursion, 0
	.set _ZN9rocsparseL17csrilu0_binsearchILj256ELj32ELb0E21rocsparse_complex_numIfEEEviPKiS4_PT2_S4_PiS4_S7_S7_d21rocsparse_index_base_imNS_24const_host_device_scalarIfEENS9_IdEENS9_IS5_EEb.has_indirect_call, 0
	.section	.AMDGPU.csdata,"",@progbits
; Kernel info:
; codeLenInByte = 2120
; TotalNumSgprs: 42
; NumVgprs: 30
; ScratchSize: 0
; MemoryBound: 0
; FloatMode: 240
; IeeeMode: 1
; LDSByteSize: 0 bytes/workgroup (compile time only)
; SGPRBlocks: 5
; VGPRBlocks: 7
; NumSGPRsForWavesPerEU: 42
; NumVGPRsForWavesPerEU: 30
; Occupancy: 8
; WaveLimiterHint : 1
; COMPUTE_PGM_RSRC2:SCRATCH_EN: 0
; COMPUTE_PGM_RSRC2:USER_SGPR: 6
; COMPUTE_PGM_RSRC2:TRAP_HANDLER: 0
; COMPUTE_PGM_RSRC2:TGID_X_EN: 1
; COMPUTE_PGM_RSRC2:TGID_Y_EN: 0
; COMPUTE_PGM_RSRC2:TGID_Z_EN: 0
; COMPUTE_PGM_RSRC2:TIDIG_COMP_CNT: 0
	.section	.text._ZN9rocsparseL12csrilu0_hashILj256ELj64ELj1E21rocsparse_complex_numIfEEEviPKiS4_PT2_S4_PiS4_S7_S7_d21rocsparse_index_base_imNS_24const_host_device_scalarIfEENS9_IdEENS9_IS5_EEb,"axG",@progbits,_ZN9rocsparseL12csrilu0_hashILj256ELj64ELj1E21rocsparse_complex_numIfEEEviPKiS4_PT2_S4_PiS4_S7_S7_d21rocsparse_index_base_imNS_24const_host_device_scalarIfEENS9_IdEENS9_IS5_EEb,comdat
	.globl	_ZN9rocsparseL12csrilu0_hashILj256ELj64ELj1E21rocsparse_complex_numIfEEEviPKiS4_PT2_S4_PiS4_S7_S7_d21rocsparse_index_base_imNS_24const_host_device_scalarIfEENS9_IdEENS9_IS5_EEb ; -- Begin function _ZN9rocsparseL12csrilu0_hashILj256ELj64ELj1E21rocsparse_complex_numIfEEEviPKiS4_PT2_S4_PiS4_S7_S7_d21rocsparse_index_base_imNS_24const_host_device_scalarIfEENS9_IdEENS9_IS5_EEb
	.p2align	8
	.type	_ZN9rocsparseL12csrilu0_hashILj256ELj64ELj1E21rocsparse_complex_numIfEEEviPKiS4_PT2_S4_PiS4_S7_S7_d21rocsparse_index_base_imNS_24const_host_device_scalarIfEENS9_IdEENS9_IS5_EEb,@function
_ZN9rocsparseL12csrilu0_hashILj256ELj64ELj1E21rocsparse_complex_numIfEEEviPKiS4_PT2_S4_PiS4_S7_S7_d21rocsparse_index_base_imNS_24const_host_device_scalarIfEENS9_IdEENS9_IS5_EEb: ; @_ZN9rocsparseL12csrilu0_hashILj256ELj64ELj1E21rocsparse_complex_numIfEEEviPKiS4_PT2_S4_PiS4_S7_S7_d21rocsparse_index_base_imNS_24const_host_device_scalarIfEENS9_IdEENS9_IS5_EEb
; %bb.0:
	s_load_dword s0, s[4:5], 0x78
	s_load_dwordx2 s[34:35], s[4:5], 0x50
	s_load_dwordx8 s[24:31], s[4:5], 0x58
	s_waitcnt lgkmcnt(0)
	s_bitcmp1_b32 s0, 0
	s_cselect_b64 s[2:3], -1, 0
	s_cmp_eq_u32 s35, 0
	s_cselect_b64 s[12:13], -1, 0
	s_cmp_lg_u32 s35, 0
	s_cselect_b64 s[8:9], -1, 0
	s_or_b64 s[14:15], s[12:13], s[2:3]
	s_xor_b64 s[0:1], s[14:15], -1
	s_and_b64 s[10:11], s[12:13], exec
	s_cselect_b32 s11, 0, s29
	s_cselect_b32 s10, 0, s28
	s_and_b64 vcc, exec, s[14:15]
	s_cbranch_vccnz .LBB33_2
; %bb.1:
	s_load_dword s7, s[26:27], 0x0
	s_mov_b64 s[10:11], s[28:29]
	s_waitcnt lgkmcnt(0)
	v_mov_b32_e32 v17, s7
	v_mov_b32_e32 v2, s10
	s_andn2_b64 vcc, exec, s[0:1]
	v_mov_b32_e32 v3, s11
	s_cbranch_vccz .LBB33_3
	s_branch .LBB33_4
.LBB33_2:
	v_mov_b32_e32 v1, s26
	v_cndmask_b32_e64 v17, v1, 0, s[12:13]
	v_mov_b32_e32 v2, s10
	s_andn2_b64 vcc, exec, s[0:1]
	v_mov_b32_e32 v3, s11
	s_cbranch_vccnz .LBB33_4
.LBB33_3:
	v_mov_b32_e32 v1, s28
	v_mov_b32_e32 v2, s29
	flat_load_dwordx2 v[2:3], v[1:2]
.LBB33_4:
	v_cndmask_b32_e64 v1, 0, 1, s[8:9]
	s_mov_b32 s33, 0
	v_cmp_ne_u32_e64 s[0:1], 1, v1
	s_andn2_b64 vcc, exec, s[8:9]
	s_mov_b32 s35, 0
	s_cbranch_vccnz .LBB33_10
; %bb.5:
	s_xor_b64 s[8:9], s[2:3], -1
	v_cndmask_b32_e64 v1, 0, 1, s[8:9]
	v_cmp_ne_u32_e64 s[2:3], 1, v1
	s_andn2_b64 vcc, exec, s[8:9]
	s_mov_b32 s33, s30
	s_cbranch_vccnz .LBB33_7
; %bb.6:
	s_load_dword s33, s[30:31], 0x0
.LBB33_7:
	s_and_b64 vcc, exec, s[2:3]
	s_cbranch_vccnz .LBB33_9
; %bb.8:
	s_load_dword s31, s[30:31], 0x4
.LBB33_9:
	s_waitcnt lgkmcnt(0)
	s_mov_b32 s35, s31
.LBB33_10:
	s_load_dword s2, s[4:5], 0x0
	s_lshl_b32 s3, s6, 2
	v_and_b32_e32 v16, 63, v0
	v_and_b32_e32 v6, 0xc0, v0
	v_mov_b32_e32 v1, 0x400
	v_lshrrev_b32_e32 v0, 6, v0
	s_and_b32 s3, s3, 0x3fffffc
	v_lshl_or_b32 v18, v6, 2, v1
	v_or_b32_e32 v0, s3, v0
	v_lshl_or_b32 v1, v16, 2, v18
	v_mov_b32_e32 v4, -1
	s_waitcnt lgkmcnt(0)
	v_cmp_gt_i32_e32 vcc, s2, v0
	ds_write_b32 v1, v4
	s_waitcnt lgkmcnt(0)
	s_and_saveexec_b64 s[2:3], vcc
	s_cbranch_execz .LBB33_88
; %bb.11:
	s_load_dwordx16 s[8:23], s[4:5], 0x8
	v_lshlrev_b32_e32 v0, 2, v0
	v_lshlrev_b32_e32 v19, 2, v6
	s_waitcnt lgkmcnt(0)
	global_load_dword v4, v0, s[18:19]
	v_mov_b32_e32 v8, s9
	v_mov_b32_e32 v10, s15
	s_waitcnt vmcnt(0)
	v_ashrrev_i32_e32 v5, 31, v4
	v_lshlrev_b64 v[0:1], 2, v[4:5]
	v_add_co_u32_e32 v7, vcc, s8, v0
	v_addc_co_u32_e32 v8, vcc, v8, v1, vcc
	global_load_dwordx2 v[7:8], v[7:8], off
	v_add_co_u32_e32 v9, vcc, s14, v0
	v_addc_co_u32_e32 v10, vcc, v10, v1, vcc
	global_load_dword v5, v[9:10], off
	s_waitcnt vmcnt(1)
	v_subrev_u32_e32 v6, s34, v7
	v_subrev_u32_e32 v9, s34, v8
	v_add_u32_e32 v7, v6, v16
	v_cmp_lt_i32_e32 vcc, v7, v9
	s_and_saveexec_b64 s[2:3], vcc
	s_cbranch_execz .LBB33_34
; %bb.12:
	s_mov_b64 s[6:7], 0
	v_mov_b32_e32 v10, s11
	v_mov_b32_e32 v11, -1
	s_branch .LBB33_14
.LBB33_13:                              ;   in Loop: Header=BB33_14 Depth=1
	s_or_b64 exec, exec, s[18:19]
	v_add_u32_e32 v7, 64, v7
	v_cmp_ge_i32_e32 vcc, v7, v9
	s_or_b64 s[6:7], vcc, s[6:7]
	s_andn2_b64 exec, exec, s[6:7]
	s_cbranch_execz .LBB33_34
.LBB33_14:                              ; =>This Loop Header: Depth=1
                                        ;     Child Loop BB33_23 Depth 2
	v_ashrrev_i32_e32 v8, 31, v7
	v_lshlrev_b64 v[12:13], 2, v[7:8]
	s_mov_b64 s[26:27], 0
	v_add_co_u32_e32 v12, vcc, s10, v12
	v_addc_co_u32_e32 v13, vcc, v10, v13, vcc
	global_load_dword v8, v[12:13], off
	v_mov_b32_e32 v12, 64
                                        ; implicit-def: $sgpr18_sgpr19
                                        ; implicit-def: $sgpr28_sgpr29
                                        ; implicit-def: $sgpr30_sgpr31
	s_waitcnt vmcnt(0)
	v_mul_lo_u32 v14, v8, 39
	s_branch .LBB33_23
.LBB33_15:                              ;   in Loop: Header=BB33_23 Depth=2
	s_or_b64 exec, exec, s[54:55]
	s_orn2_b64 s[50:51], s[50:51], exec
	s_orn2_b64 s[52:53], s[52:53], exec
.LBB33_16:                              ;   in Loop: Header=BB33_23 Depth=2
	s_or_b64 exec, exec, s[48:49]
	s_and_b64 s[50:51], s[50:51], exec
	s_orn2_b64 s[48:49], s[52:53], exec
.LBB33_17:                              ;   in Loop: Header=BB33_23 Depth=2
	s_or_b64 exec, exec, s[46:47]
	s_orn2_b64 s[50:51], s[50:51], exec
	s_orn2_b64 s[46:47], s[48:49], exec
.LBB33_18:                              ;   in Loop: Header=BB33_23 Depth=2
	s_or_b64 exec, exec, s[44:45]
	s_and_b64 s[48:49], s[50:51], exec
	s_orn2_b64 s[44:45], s[46:47], exec
.LBB33_19:                              ;   in Loop: Header=BB33_23 Depth=2
	s_or_b64 exec, exec, s[42:43]
	s_orn2_b64 s[42:43], s[48:49], exec
	s_orn2_b64 s[44:45], s[44:45], exec
.LBB33_20:                              ;   in Loop: Header=BB33_23 Depth=2
	s_or_b64 exec, exec, s[40:41]
	s_and_b64 s[42:43], s[42:43], exec
	s_orn2_b64 s[40:41], s[44:45], exec
.LBB33_21:                              ;   in Loop: Header=BB33_23 Depth=2
	s_or_b64 exec, exec, s[38:39]
	s_andn2_b64 s[30:31], s[30:31], exec
	s_and_b64 s[38:39], s[42:43], exec
	s_or_b64 s[30:31], s[30:31], s[38:39]
	s_andn2_b64 s[28:29], s[28:29], exec
	s_and_b64 s[38:39], s[40:41], exec
	s_or_b64 s[28:29], s[28:29], s[38:39]
.LBB33_22:                              ;   in Loop: Header=BB33_23 Depth=2
	s_or_b64 exec, exec, s[36:37]
	s_and_b64 s[36:37], exec, s[28:29]
	s_or_b64 s[26:27], s[36:37], s[26:27]
	s_andn2_b64 s[18:19], s[18:19], exec
	s_and_b64 s[36:37], s[30:31], exec
	s_or_b64 s[18:19], s[18:19], s[36:37]
	s_andn2_b64 exec, exec, s[26:27]
	s_cbranch_execz .LBB33_32
.LBB33_23:                              ;   Parent Loop BB33_14 Depth=1
                                        ; =>  This Inner Loop Header: Depth=2
	v_and_b32_e32 v13, 63, v14
	v_lshl_add_u32 v15, v13, 2, v18
	ds_read_b32 v20, v15
	s_or_b64 s[30:31], s[30:31], exec
	s_or_b64 s[28:29], s[28:29], exec
	s_waitcnt lgkmcnt(0)
	v_cmp_ne_u32_e32 vcc, v20, v8
	s_and_saveexec_b64 s[36:37], vcc
	s_cbranch_execz .LBB33_22
; %bb.24:                               ;   in Loop: Header=BB33_23 Depth=2
	ds_cmpst_rtn_b32 v15, v15, v11, v8
	s_mov_b64 s[40:41], -1
	s_mov_b64 s[42:43], 0
	s_waitcnt lgkmcnt(0)
	v_cmp_ne_u32_e32 vcc, -1, v15
	s_and_saveexec_b64 s[38:39], vcc
	s_cbranch_execz .LBB33_21
; %bb.25:                               ;   in Loop: Header=BB33_23 Depth=2
	v_add_u32_e32 v13, 1, v14
	v_and_b32_e32 v13, 63, v13
	v_lshl_add_u32 v15, v13, 2, v18
	ds_read_b32 v20, v15
	s_mov_b64 s[44:45], -1
	s_mov_b64 s[42:43], -1
	s_waitcnt lgkmcnt(0)
	v_cmp_ne_u32_e32 vcc, v20, v8
	s_and_saveexec_b64 s[40:41], vcc
	s_cbranch_execz .LBB33_20
; %bb.26:                               ;   in Loop: Header=BB33_23 Depth=2
	ds_cmpst_rtn_b32 v15, v15, v11, v8
	s_mov_b64 s[48:49], 0
	s_waitcnt lgkmcnt(0)
	v_cmp_ne_u32_e32 vcc, -1, v15
	s_and_saveexec_b64 s[42:43], vcc
	s_cbranch_execz .LBB33_19
; %bb.27:                               ;   in Loop: Header=BB33_23 Depth=2
	v_add_u32_e32 v13, 2, v14
	v_and_b32_e32 v13, 63, v13
	v_lshl_add_u32 v15, v13, 2, v18
	ds_read_b32 v20, v15
	s_mov_b64 s[46:47], -1
	s_mov_b64 s[50:51], -1
	s_waitcnt lgkmcnt(0)
	v_cmp_ne_u32_e32 vcc, v20, v8
	s_and_saveexec_b64 s[44:45], vcc
	s_cbranch_execz .LBB33_18
; %bb.28:                               ;   in Loop: Header=BB33_23 Depth=2
	ds_cmpst_rtn_b32 v15, v15, v11, v8
	s_mov_b64 s[48:49], -1
	s_mov_b64 s[50:51], 0
	s_waitcnt lgkmcnt(0)
	v_cmp_ne_u32_e32 vcc, -1, v15
	s_and_saveexec_b64 s[46:47], vcc
	s_cbranch_execz .LBB33_17
; %bb.29:                               ;   in Loop: Header=BB33_23 Depth=2
	v_add_u32_e32 v13, 3, v14
	v_and_b32_e32 v13, 63, v13
	v_lshl_add_u32 v15, v13, 2, v18
	ds_read_b32 v14, v15
	s_mov_b64 s[52:53], -1
	s_mov_b64 s[50:51], -1
	s_waitcnt lgkmcnt(0)
	v_cmp_ne_u32_e32 vcc, v14, v8
                                        ; implicit-def: $vgpr14
	s_and_saveexec_b64 s[48:49], vcc
	s_cbranch_execz .LBB33_16
; %bb.30:                               ;   in Loop: Header=BB33_23 Depth=2
	ds_cmpst_rtn_b32 v14, v15, v11, v8
	s_mov_b64 s[50:51], 0
	s_waitcnt lgkmcnt(0)
	v_cmp_ne_u32_e32 vcc, -1, v14
                                        ; implicit-def: $vgpr14
	s_and_saveexec_b64 s[54:55], vcc
	s_cbranch_execz .LBB33_15
; %bb.31:                               ;   in Loop: Header=BB33_23 Depth=2
	v_add_u32_e32 v12, -4, v12
	v_cmp_eq_u32_e32 vcc, 0, v12
	s_mov_b64 s[50:51], exec
	v_add_u32_e32 v14, 1, v13
	s_orn2_b64 s[52:53], vcc, exec
	s_branch .LBB33_15
.LBB33_32:                              ;   in Loop: Header=BB33_14 Depth=1
	s_or_b64 exec, exec, s[26:27]
	s_xor_b64 s[18:19], s[18:19], -1
	s_and_saveexec_b64 s[26:27], s[18:19]
	s_xor_b64 s[18:19], exec, s[26:27]
	s_cbranch_execz .LBB33_13
; %bb.33:                               ;   in Loop: Header=BB33_14 Depth=1
	v_lshl_add_u32 v8, v13, 2, v19
	ds_write_b32 v8, v7
	s_branch .LBB33_13
.LBB33_34:
	s_or_b64 exec, exec, s[2:3]
	s_waitcnt vmcnt(0)
	v_cmp_lt_i32_e32 vcc, v6, v5
	s_waitcnt lgkmcnt(0)
	s_and_saveexec_b64 s[6:7], vcc
	s_cbranch_execz .LBB33_64
; %bb.35:
	v_add_u32_e32 v20, 1, v16
	s_mov_b64 s[18:19], 0
	v_mov_b32_e32 v21, s11
	v_mov_b32_e32 v22, s13
	;; [unrolled: 1-line block ×5, first 2 shown]
	s_branch .LBB33_38
.LBB33_36:                              ;   in Loop: Header=BB33_38 Depth=1
	s_or_b64 exec, exec, s[26:27]
	v_add_u32_e32 v6, 1, v6
	v_cmp_ge_i32_e32 vcc, v6, v5
	s_orn2_b64 s[26:27], vcc, exec
.LBB33_37:                              ;   in Loop: Header=BB33_38 Depth=1
	s_or_b64 exec, exec, s[2:3]
	s_and_b64 s[2:3], exec, s[26:27]
	s_or_b64 s[18:19], s[2:3], s[18:19]
	s_andn2_b64 exec, exec, s[18:19]
	s_cbranch_execz .LBB33_64
.LBB33_38:                              ; =>This Loop Header: Depth=1
                                        ;     Child Loop BB33_39 Depth 2
                                        ;     Child Loop BB33_44 Depth 2
                                        ;       Child Loop BB33_53 Depth 3
	v_ashrrev_i32_e32 v7, 31, v6
	v_lshlrev_b64 v[8:9], 2, v[6:7]
	s_mov_b64 s[2:3], 0
	v_add_co_u32_e32 v8, vcc, s10, v8
	v_addc_co_u32_e32 v9, vcc, v21, v9, vcc
	global_load_dword v10, v[8:9], off
	v_lshlrev_b64 v[7:8], 3, v[6:7]
	v_add_co_u32_e32 v11, vcc, s12, v7
	v_addc_co_u32_e32 v12, vcc, v22, v8, vcc
	global_load_dwordx2 v[8:9], v[11:12], off
	s_waitcnt vmcnt(1)
	v_subrev_u32_e32 v13, s34, v10
	v_ashrrev_i32_e32 v14, 31, v13
	v_lshlrev_b64 v[13:14], 2, v[13:14]
	v_add_co_u32_e32 v26, vcc, s8, v13
	v_addc_co_u32_e32 v27, vcc, v23, v14, vcc
	v_add_co_u32_e32 v28, vcc, s14, v13
	v_addc_co_u32_e32 v29, vcc, v24, v14, vcc
	global_load_dword v7, v[26:27], off offset:4
	global_load_dword v10, v[28:29], off
	v_add_co_u32_e32 v13, vcc, s16, v13
	v_addc_co_u32_e32 v14, vcc, v25, v14, vcc
.LBB33_39:                              ;   Parent Loop BB33_38 Depth=1
                                        ; =>  This Inner Loop Header: Depth=2
	global_load_dword v15, v[13:14], off glc
	s_waitcnt vmcnt(0)
	v_cmp_ne_u32_e32 vcc, 0, v15
	s_or_b64 s[2:3], vcc, s[2:3]
	s_andn2_b64 exec, exec, s[2:3]
	s_cbranch_execnz .LBB33_39
; %bb.40:                               ;   in Loop: Header=BB33_38 Depth=1
	s_or_b64 exec, exec, s[2:3]
	v_subrev_u32_e32 v26, s34, v7
	v_add_u32_e32 v7, -1, v26
	v_cmp_eq_u32_e32 vcc, -1, v10
	v_cndmask_b32_e32 v13, v10, v7, vcc
	v_ashrrev_i32_e32 v14, 31, v13
	v_lshlrev_b64 v[14:15], 3, v[13:14]
	buffer_wbinvl1_vol
	v_add_co_u32_e32 v14, vcc, s12, v14
	v_addc_co_u32_e32 v15, vcc, v22, v15, vcc
	global_load_dwordx2 v[14:15], v[14:15], off
	s_mov_b64 s[26:27], -1
	s_waitcnt vmcnt(0)
	v_cmp_neq_f32_e32 vcc, 0, v14
	v_cmp_neq_f32_e64 s[2:3], 0, v15
	s_or_b64 s[28:29], vcc, s[2:3]
	s_and_saveexec_b64 s[2:3], s[28:29]
	s_cbranch_execz .LBB33_37
; %bb.41:                               ;   in Loop: Header=BB33_38 Depth=1
	v_mul_f32_e32 v10, v15, v15
	v_fmac_f32_e32 v10, v14, v14
	v_div_scale_f32 v7, s[26:27], v10, v10, 1.0
	v_div_scale_f32 v27, vcc, 1.0, v10, 1.0
	v_rcp_f32_e32 v28, v7
	v_fma_f32 v29, -v7, v28, 1.0
	v_fmac_f32_e32 v28, v29, v28
	v_mul_f32_e32 v29, v27, v28
	v_fma_f32 v30, -v7, v29, v27
	v_fmac_f32_e32 v29, v30, v28
	v_fma_f32 v7, -v7, v29, v27
	v_div_fmas_f32 v27, v7, v28, v29
	v_mul_f32_e32 v28, v9, v15
	v_mul_f32_e64 v15, v15, -v8
	v_add_u32_e32 v7, v20, v13
	v_fmac_f32_e32 v28, v8, v14
	v_fmac_f32_e32 v15, v9, v14
	v_cmp_lt_i32_e32 vcc, v7, v26
	v_div_fixup_f32 v8, v27, v10, 1.0
	v_mul_f32_e32 v9, v28, v8
	v_mul_f32_e32 v10, v15, v8
	global_store_dwordx2 v[11:12], v[9:10], off
	s_and_saveexec_b64 s[26:27], vcc
	s_cbranch_execz .LBB33_36
; %bb.42:                               ;   in Loop: Header=BB33_38 Depth=1
	s_mov_b64 s[28:29], 0
	s_branch .LBB33_44
.LBB33_43:                              ;   in Loop: Header=BB33_44 Depth=2
	s_or_b64 exec, exec, s[30:31]
	v_add_u32_e32 v7, 64, v7
	v_cmp_ge_i32_e32 vcc, v7, v26
	s_or_b64 s[28:29], vcc, s[28:29]
	s_andn2_b64 exec, exec, s[28:29]
	s_cbranch_execz .LBB33_36
.LBB33_44:                              ;   Parent Loop BB33_38 Depth=1
                                        ; =>  This Loop Header: Depth=2
                                        ;       Child Loop BB33_53 Depth 3
	v_ashrrev_i32_e32 v8, 31, v7
	v_lshlrev_b64 v[11:12], 2, v[7:8]
	v_mov_b32_e32 v13, s11
	v_add_co_u32_e32 v11, vcc, s10, v11
	v_addc_co_u32_e32 v12, vcc, v13, v12, vcc
	global_load_dword v11, v[11:12], off
	v_mov_b32_e32 v12, 64
	s_mov_b64 s[36:37], 0
                                        ; implicit-def: $sgpr30_sgpr31
                                        ; implicit-def: $sgpr38_sgpr39
                                        ; implicit-def: $sgpr40_sgpr41
	s_waitcnt vmcnt(0)
	v_mul_lo_u32 v14, v11, 39
	s_branch .LBB33_53
.LBB33_45:                              ;   in Loop: Header=BB33_53 Depth=3
	s_or_b64 exec, exec, s[60:61]
	s_orn2_b64 s[56:57], s[56:57], exec
	s_orn2_b64 s[58:59], s[58:59], exec
.LBB33_46:                              ;   in Loop: Header=BB33_53 Depth=3
	s_or_b64 exec, exec, s[54:55]
	s_and_b64 s[56:57], s[56:57], exec
	s_orn2_b64 s[54:55], s[58:59], exec
.LBB33_47:                              ;   in Loop: Header=BB33_53 Depth=3
	s_or_b64 exec, exec, s[52:53]
	s_orn2_b64 s[56:57], s[56:57], exec
	s_orn2_b64 s[52:53], s[54:55], exec
.LBB33_48:                              ;   in Loop: Header=BB33_53 Depth=3
	s_or_b64 exec, exec, s[50:51]
	s_and_b64 s[54:55], s[56:57], exec
	s_orn2_b64 s[50:51], s[52:53], exec
.LBB33_49:                              ;   in Loop: Header=BB33_53 Depth=3
	s_or_b64 exec, exec, s[48:49]
	s_orn2_b64 s[48:49], s[54:55], exec
	s_orn2_b64 s[50:51], s[50:51], exec
.LBB33_50:                              ;   in Loop: Header=BB33_53 Depth=3
	s_or_b64 exec, exec, s[46:47]
	s_and_b64 s[48:49], s[48:49], exec
	s_orn2_b64 s[46:47], s[50:51], exec
.LBB33_51:                              ;   in Loop: Header=BB33_53 Depth=3
	s_or_b64 exec, exec, s[44:45]
	s_andn2_b64 s[40:41], s[40:41], exec
	s_and_b64 s[44:45], s[48:49], exec
	s_or_b64 s[40:41], s[40:41], s[44:45]
	s_andn2_b64 s[38:39], s[38:39], exec
	s_and_b64 s[44:45], s[46:47], exec
	s_or_b64 s[38:39], s[38:39], s[44:45]
.LBB33_52:                              ;   in Loop: Header=BB33_53 Depth=3
	s_or_b64 exec, exec, s[42:43]
	s_and_b64 s[42:43], exec, s[38:39]
	s_or_b64 s[36:37], s[42:43], s[36:37]
	s_andn2_b64 s[30:31], s[30:31], exec
	s_and_b64 s[42:43], s[40:41], exec
	s_or_b64 s[30:31], s[30:31], s[42:43]
	s_andn2_b64 exec, exec, s[36:37]
	s_cbranch_execz .LBB33_62
.LBB33_53:                              ;   Parent Loop BB33_38 Depth=1
                                        ;     Parent Loop BB33_44 Depth=2
                                        ; =>    This Inner Loop Header: Depth=3
	v_and_b32_e32 v13, 63, v14
	v_lshl_add_u32 v15, v13, 2, v18
	ds_read_b32 v15, v15
	s_or_b64 s[40:41], s[40:41], exec
	s_or_b64 s[38:39], s[38:39], exec
	s_waitcnt lgkmcnt(0)
	v_cmp_ne_u32_e32 vcc, -1, v15
	s_and_saveexec_b64 s[42:43], vcc
	s_cbranch_execz .LBB33_52
; %bb.54:                               ;   in Loop: Header=BB33_53 Depth=3
	v_cmp_ne_u32_e32 vcc, v15, v11
	s_mov_b64 s[46:47], -1
	s_mov_b64 s[48:49], 0
	s_and_saveexec_b64 s[44:45], vcc
	s_cbranch_execz .LBB33_51
; %bb.55:                               ;   in Loop: Header=BB33_53 Depth=3
	v_add_u32_e32 v13, 1, v14
	v_and_b32_e32 v13, 63, v13
	v_lshl_add_u32 v15, v13, 2, v18
	ds_read_b32 v15, v15
	s_mov_b64 s[50:51], -1
	s_mov_b64 s[48:49], -1
	s_waitcnt lgkmcnt(0)
	v_cmp_ne_u32_e32 vcc, -1, v15
	s_and_saveexec_b64 s[46:47], vcc
	s_cbranch_execz .LBB33_50
; %bb.56:                               ;   in Loop: Header=BB33_53 Depth=3
	v_cmp_ne_u32_e32 vcc, v15, v11
	s_mov_b64 s[54:55], 0
	s_and_saveexec_b64 s[48:49], vcc
	s_cbranch_execz .LBB33_49
; %bb.57:                               ;   in Loop: Header=BB33_53 Depth=3
	v_add_u32_e32 v13, 2, v14
	v_and_b32_e32 v13, 63, v13
	v_lshl_add_u32 v15, v13, 2, v18
	ds_read_b32 v15, v15
	s_mov_b64 s[52:53], -1
	s_mov_b64 s[56:57], -1
	s_waitcnt lgkmcnt(0)
	v_cmp_ne_u32_e32 vcc, -1, v15
	s_and_saveexec_b64 s[50:51], vcc
	s_cbranch_execz .LBB33_48
; %bb.58:                               ;   in Loop: Header=BB33_53 Depth=3
	v_cmp_ne_u32_e32 vcc, v15, v11
	s_mov_b64 s[54:55], -1
	s_mov_b64 s[56:57], 0
	s_and_saveexec_b64 s[52:53], vcc
	s_cbranch_execz .LBB33_47
; %bb.59:                               ;   in Loop: Header=BB33_53 Depth=3
	v_add_u32_e32 v13, 3, v14
	v_and_b32_e32 v13, 63, v13
	v_lshl_add_u32 v14, v13, 2, v18
	ds_read_b32 v15, v14
	s_mov_b64 s[58:59], -1
	s_mov_b64 s[56:57], -1
                                        ; implicit-def: $vgpr14
	s_waitcnt lgkmcnt(0)
	v_cmp_ne_u32_e32 vcc, -1, v15
	s_and_saveexec_b64 s[54:55], vcc
	s_cbranch_execz .LBB33_46
; %bb.60:                               ;   in Loop: Header=BB33_53 Depth=3
	v_cmp_ne_u32_e32 vcc, v15, v11
	s_mov_b64 s[56:57], 0
                                        ; implicit-def: $vgpr14
	s_and_saveexec_b64 s[60:61], vcc
	s_cbranch_execz .LBB33_45
; %bb.61:                               ;   in Loop: Header=BB33_53 Depth=3
	v_add_u32_e32 v12, -4, v12
	v_cmp_eq_u32_e32 vcc, 0, v12
	s_mov_b64 s[56:57], exec
	v_add_u32_e32 v14, 1, v13
	s_orn2_b64 s[58:59], vcc, exec
	s_branch .LBB33_45
.LBB33_62:                              ;   in Loop: Header=BB33_44 Depth=2
	s_or_b64 exec, exec, s[36:37]
	s_xor_b64 s[30:31], s[30:31], -1
	s_and_saveexec_b64 s[36:37], s[30:31]
	s_xor_b64 s[30:31], exec, s[36:37]
	s_cbranch_execz .LBB33_43
; %bb.63:                               ;   in Loop: Header=BB33_44 Depth=2
	v_lshl_add_u32 v11, v13, 2, v19
	ds_read_b32 v11, v11
	v_lshlrev_b64 v[13:14], 3, v[7:8]
	v_mov_b32_e32 v8, s13
	v_add_co_u32_e32 v13, vcc, s12, v13
	s_waitcnt lgkmcnt(0)
	v_ashrrev_i32_e32 v12, 31, v11
	v_lshlrev_b64 v[11:12], 3, v[11:12]
	v_addc_co_u32_e32 v14, vcc, v8, v14, vcc
	v_add_co_u32_e32 v11, vcc, s12, v11
	v_addc_co_u32_e32 v12, vcc, v8, v12, vcc
	global_load_dwordx2 v[27:28], v[13:14], off
	global_load_dwordx2 v[29:30], v[11:12], off
	s_waitcnt vmcnt(0)
	v_fma_f32 v13, -v9, v27, v29
	v_fma_f32 v8, -v10, v27, v30
	v_fmac_f32_e32 v13, v10, v28
	v_fma_f32 v14, -v9, v28, v8
	global_store_dwordx2 v[11:12], v[13:14], off
	s_branch .LBB33_43
.LBB33_64:
	s_or_b64 exec, exec, s[6:7]
	v_cmp_lt_i32_e32 vcc, -1, v5
	s_and_saveexec_b64 s[6:7], vcc
	s_cbranch_execz .LBB33_86
; %bb.65:
	v_mov_b32_e32 v6, 0
	v_lshlrev_b64 v[7:8], 3, v[5:6]
	v_mov_b32_e32 v5, s13
	v_add_co_u32_e32 v9, vcc, s12, v7
	v_addc_co_u32_e32 v10, vcc, v5, v8, vcc
	global_load_dwordx2 v[7:8], v[9:10], off
	s_waitcnt vmcnt(0)
	v_cmp_gt_f32_e32 vcc, 0, v7
	v_cndmask_b32_e64 v5, v7, -v7, vcc
	v_cmp_gt_f32_e32 vcc, 0, v8
	v_cndmask_b32_e64 v11, v8, -v8, vcc
	v_cmp_ngt_f32_e32 vcc, v5, v11
	s_and_saveexec_b64 s[2:3], vcc
	s_xor_b64 s[8:9], exec, s[2:3]
	s_cbranch_execz .LBB33_69
; %bb.66:
	v_cmp_neq_f32_e32 vcc, 0, v8
	s_and_saveexec_b64 s[10:11], vcc
	s_cbranch_execz .LBB33_68
; %bb.67:
	v_div_scale_f32 v6, s[2:3], v11, v11, v5
	v_div_scale_f32 v12, vcc, v5, v11, v5
	s_mov_b32 s2, 0xf800000
	v_rcp_f32_e32 v13, v6
	v_fma_f32 v14, -v6, v13, 1.0
	v_fmac_f32_e32 v13, v14, v13
	v_mul_f32_e32 v14, v12, v13
	v_fma_f32 v15, -v6, v14, v12
	v_fmac_f32_e32 v14, v15, v13
	v_fma_f32 v6, -v6, v14, v12
	v_div_fmas_f32 v6, v6, v13, v14
	v_mov_b32_e32 v12, 0x260
	v_div_fixup_f32 v5, v6, v11, v5
	v_fma_f32 v5, v5, v5, 1.0
	v_mul_f32_e32 v6, 0x4f800000, v5
	v_cmp_gt_f32_e32 vcc, s2, v5
	v_cndmask_b32_e32 v5, v5, v6, vcc
	v_sqrt_f32_e32 v6, v5
	v_add_u32_e32 v13, -1, v6
	v_add_u32_e32 v14, 1, v6
	v_fma_f32 v15, -v13, v6, v5
	v_fma_f32 v18, -v14, v6, v5
	v_cmp_ge_f32_e64 s[2:3], 0, v15
	v_cndmask_b32_e64 v6, v6, v13, s[2:3]
	v_cmp_lt_f32_e64 s[2:3], 0, v18
	v_cndmask_b32_e64 v6, v6, v14, s[2:3]
	v_mul_f32_e32 v13, 0x37800000, v6
	v_cndmask_b32_e32 v6, v6, v13, vcc
	v_cmp_class_f32_e32 vcc, v5, v12
	v_cndmask_b32_e32 v5, v6, v5, vcc
	v_mul_f32_e32 v6, v11, v5
.LBB33_68:
	s_or_b64 exec, exec, s[10:11]
                                        ; implicit-def: $vgpr5
                                        ; implicit-def: $vgpr11
.LBB33_69:
	s_andn2_saveexec_b64 s[8:9], s[8:9]
	s_cbranch_execz .LBB33_71
; %bb.70:
	v_div_scale_f32 v6, s[2:3], v5, v5, v11
	v_div_scale_f32 v12, vcc, v11, v5, v11
	s_mov_b32 s2, 0xf800000
	v_rcp_f32_e32 v13, v6
	v_fma_f32 v14, -v6, v13, 1.0
	v_fmac_f32_e32 v13, v14, v13
	v_mul_f32_e32 v14, v12, v13
	v_fma_f32 v15, -v6, v14, v12
	v_fmac_f32_e32 v14, v15, v13
	v_fma_f32 v6, -v6, v14, v12
	v_div_fmas_f32 v6, v6, v13, v14
	v_mov_b32_e32 v12, 0x260
	v_div_fixup_f32 v6, v6, v5, v11
	v_fma_f32 v6, v6, v6, 1.0
	v_mul_f32_e32 v11, 0x4f800000, v6
	v_cmp_gt_f32_e32 vcc, s2, v6
	v_cndmask_b32_e32 v6, v6, v11, vcc
	v_sqrt_f32_e32 v11, v6
	v_add_u32_e32 v13, -1, v11
	v_add_u32_e32 v14, 1, v11
	v_fma_f32 v15, -v13, v11, v6
	v_fma_f32 v18, -v14, v11, v6
	v_cmp_ge_f32_e64 s[2:3], 0, v15
	v_cndmask_b32_e64 v11, v11, v13, s[2:3]
	v_cmp_lt_f32_e64 s[2:3], 0, v18
	v_cndmask_b32_e64 v11, v11, v14, s[2:3]
	v_mul_f32_e32 v13, 0x37800000, v11
	v_cndmask_b32_e32 v11, v11, v13, vcc
	v_cmp_class_f32_e32 vcc, v6, v12
	v_cndmask_b32_e32 v6, v11, v6, vcc
	v_mul_f32_e32 v6, v5, v6
.LBB33_71:
	s_or_b64 exec, exec, s[8:9]
	v_cvt_f64_f32_e32 v[5:6], v6
	v_cmp_eq_u32_e64 s[2:3], 0, v16
	s_and_b64 vcc, exec, s[0:1]
	s_mov_b64 s[0:1], -1
	s_cbranch_vccnz .LBB33_75
; %bb.72:
	v_cvt_f64_f32_e32 v[11:12], v17
	s_cmp_eq_u64 s[24:25], 8
	s_cselect_b64 vcc, -1, 0
	v_cndmask_b32_e32 v3, v12, v3, vcc
	v_cndmask_b32_e32 v2, v11, v2, vcc
	v_cmp_ge_f64_e32 vcc, v[2:3], v[5:6]
	s_and_b64 s[8:9], s[2:3], vcc
	s_and_saveexec_b64 s[0:1], s[8:9]
	s_cbranch_execz .LBB33_74
; %bb.73:
	v_mov_b32_e32 v2, s33
	v_mov_b32_e32 v3, s35
	global_store_dwordx2 v[9:10], v[2:3], off
	s_waitcnt vmcnt(0)
	buffer_wbinvl1_vol
.LBB33_74:
	s_or_b64 exec, exec, s[0:1]
	s_mov_b64 s[0:1], 0
.LBB33_75:
	s_andn2_b64 vcc, exec, s[0:1]
	s_cbranch_vccnz .LBB33_86
; %bb.76:
	s_load_dwordx2 s[0:1], s[4:5], 0x48
	v_add_u32_e32 v2, s34, v4
	s_waitcnt lgkmcnt(0)
	v_cmp_ge_f64_e32 vcc, s[0:1], v[5:6]
	s_and_b64 s[4:5], s[2:3], vcc
	s_and_saveexec_b64 s[0:1], s[4:5]
	s_cbranch_execz .LBB33_81
; %bb.77:
	s_mov_b64 s[4:5], exec
	s_brev_b32 s8, -2
.LBB33_78:                              ; =>This Inner Loop Header: Depth=1
	s_ff1_i32_b64 s9, s[4:5]
	v_readlane_b32 s12, v2, s9
	s_lshl_b64 s[10:11], 1, s9
	s_min_i32 s8, s8, s12
	s_andn2_b64 s[4:5], s[4:5], s[10:11]
	s_cmp_lg_u64 s[4:5], 0
	s_cbranch_scc1 .LBB33_78
; %bb.79:
	v_mbcnt_lo_u32_b32 v3, exec_lo, 0
	v_mbcnt_hi_u32_b32 v3, exec_hi, v3
	v_cmp_eq_u32_e32 vcc, 0, v3
	s_and_saveexec_b64 s[4:5], vcc
	s_xor_b64 s[4:5], exec, s[4:5]
	s_cbranch_execz .LBB33_81
; %bb.80:
	v_mov_b32_e32 v3, 0
	v_mov_b32_e32 v4, s8
	global_atomic_smin v3, v4, s[22:23]
.LBB33_81:
	s_or_b64 exec, exec, s[0:1]
	v_cmp_eq_f32_e32 vcc, 0, v7
	v_cmp_eq_f32_e64 s[0:1], 0, v8
	s_and_b64 s[0:1], vcc, s[0:1]
	s_and_b64 s[0:1], s[2:3], s[0:1]
	s_and_b64 exec, exec, s[0:1]
	s_cbranch_execz .LBB33_86
; %bb.82:
	s_mov_b64 s[0:1], exec
	s_brev_b32 s2, -2
.LBB33_83:                              ; =>This Inner Loop Header: Depth=1
	s_ff1_i32_b64 s3, s[0:1]
	v_readlane_b32 s8, v2, s3
	s_lshl_b64 s[4:5], 1, s3
	s_min_i32 s2, s2, s8
	s_andn2_b64 s[0:1], s[0:1], s[4:5]
	s_cmp_lg_u64 s[0:1], 0
	s_cbranch_scc1 .LBB33_83
; %bb.84:
	v_mbcnt_lo_u32_b32 v2, exec_lo, 0
	v_mbcnt_hi_u32_b32 v2, exec_hi, v2
	v_cmp_eq_u32_e32 vcc, 0, v2
	s_and_saveexec_b64 s[0:1], vcc
	s_xor_b64 s[0:1], exec, s[0:1]
	s_cbranch_execz .LBB33_86
; %bb.85:
	v_mov_b32_e32 v2, 0
	v_mov_b32_e32 v3, s2
	global_atomic_smin v2, v3, s[20:21]
.LBB33_86:
	s_or_b64 exec, exec, s[6:7]
	v_cmp_eq_u32_e32 vcc, 0, v16
	s_waitcnt vmcnt(0)
	buffer_wbinvl1_vol
	s_and_b64 exec, exec, vcc
	s_cbranch_execz .LBB33_88
; %bb.87:
	v_mov_b32_e32 v2, s17
	v_add_co_u32_e32 v0, vcc, s16, v0
	v_addc_co_u32_e32 v1, vcc, v2, v1, vcc
	v_mov_b32_e32 v2, 1
	global_store_dword v[0:1], v2, off
.LBB33_88:
	s_endpgm
	.section	.rodata,"a",@progbits
	.p2align	6, 0x0
	.amdhsa_kernel _ZN9rocsparseL12csrilu0_hashILj256ELj64ELj1E21rocsparse_complex_numIfEEEviPKiS4_PT2_S4_PiS4_S7_S7_d21rocsparse_index_base_imNS_24const_host_device_scalarIfEENS9_IdEENS9_IS5_EEb
		.amdhsa_group_segment_fixed_size 2048
		.amdhsa_private_segment_fixed_size 0
		.amdhsa_kernarg_size 124
		.amdhsa_user_sgpr_count 6
		.amdhsa_user_sgpr_private_segment_buffer 1
		.amdhsa_user_sgpr_dispatch_ptr 0
		.amdhsa_user_sgpr_queue_ptr 0
		.amdhsa_user_sgpr_kernarg_segment_ptr 1
		.amdhsa_user_sgpr_dispatch_id 0
		.amdhsa_user_sgpr_flat_scratch_init 0
		.amdhsa_user_sgpr_private_segment_size 0
		.amdhsa_uses_dynamic_stack 0
		.amdhsa_system_sgpr_private_segment_wavefront_offset 0
		.amdhsa_system_sgpr_workgroup_id_x 1
		.amdhsa_system_sgpr_workgroup_id_y 0
		.amdhsa_system_sgpr_workgroup_id_z 0
		.amdhsa_system_sgpr_workgroup_info 0
		.amdhsa_system_vgpr_workitem_id 0
		.amdhsa_next_free_vgpr 31
		.amdhsa_next_free_sgpr 62
		.amdhsa_reserve_vcc 1
		.amdhsa_reserve_flat_scratch 0
		.amdhsa_float_round_mode_32 0
		.amdhsa_float_round_mode_16_64 0
		.amdhsa_float_denorm_mode_32 3
		.amdhsa_float_denorm_mode_16_64 3
		.amdhsa_dx10_clamp 1
		.amdhsa_ieee_mode 1
		.amdhsa_fp16_overflow 0
		.amdhsa_exception_fp_ieee_invalid_op 0
		.amdhsa_exception_fp_denorm_src 0
		.amdhsa_exception_fp_ieee_div_zero 0
		.amdhsa_exception_fp_ieee_overflow 0
		.amdhsa_exception_fp_ieee_underflow 0
		.amdhsa_exception_fp_ieee_inexact 0
		.amdhsa_exception_int_div_zero 0
	.end_amdhsa_kernel
	.section	.text._ZN9rocsparseL12csrilu0_hashILj256ELj64ELj1E21rocsparse_complex_numIfEEEviPKiS4_PT2_S4_PiS4_S7_S7_d21rocsparse_index_base_imNS_24const_host_device_scalarIfEENS9_IdEENS9_IS5_EEb,"axG",@progbits,_ZN9rocsparseL12csrilu0_hashILj256ELj64ELj1E21rocsparse_complex_numIfEEEviPKiS4_PT2_S4_PiS4_S7_S7_d21rocsparse_index_base_imNS_24const_host_device_scalarIfEENS9_IdEENS9_IS5_EEb,comdat
.Lfunc_end33:
	.size	_ZN9rocsparseL12csrilu0_hashILj256ELj64ELj1E21rocsparse_complex_numIfEEEviPKiS4_PT2_S4_PiS4_S7_S7_d21rocsparse_index_base_imNS_24const_host_device_scalarIfEENS9_IdEENS9_IS5_EEb, .Lfunc_end33-_ZN9rocsparseL12csrilu0_hashILj256ELj64ELj1E21rocsparse_complex_numIfEEEviPKiS4_PT2_S4_PiS4_S7_S7_d21rocsparse_index_base_imNS_24const_host_device_scalarIfEENS9_IdEENS9_IS5_EEb
                                        ; -- End function
	.set _ZN9rocsparseL12csrilu0_hashILj256ELj64ELj1E21rocsparse_complex_numIfEEEviPKiS4_PT2_S4_PiS4_S7_S7_d21rocsparse_index_base_imNS_24const_host_device_scalarIfEENS9_IdEENS9_IS5_EEb.num_vgpr, 31
	.set _ZN9rocsparseL12csrilu0_hashILj256ELj64ELj1E21rocsparse_complex_numIfEEEviPKiS4_PT2_S4_PiS4_S7_S7_d21rocsparse_index_base_imNS_24const_host_device_scalarIfEENS9_IdEENS9_IS5_EEb.num_agpr, 0
	.set _ZN9rocsparseL12csrilu0_hashILj256ELj64ELj1E21rocsparse_complex_numIfEEEviPKiS4_PT2_S4_PiS4_S7_S7_d21rocsparse_index_base_imNS_24const_host_device_scalarIfEENS9_IdEENS9_IS5_EEb.numbered_sgpr, 62
	.set _ZN9rocsparseL12csrilu0_hashILj256ELj64ELj1E21rocsparse_complex_numIfEEEviPKiS4_PT2_S4_PiS4_S7_S7_d21rocsparse_index_base_imNS_24const_host_device_scalarIfEENS9_IdEENS9_IS5_EEb.num_named_barrier, 0
	.set _ZN9rocsparseL12csrilu0_hashILj256ELj64ELj1E21rocsparse_complex_numIfEEEviPKiS4_PT2_S4_PiS4_S7_S7_d21rocsparse_index_base_imNS_24const_host_device_scalarIfEENS9_IdEENS9_IS5_EEb.private_seg_size, 0
	.set _ZN9rocsparseL12csrilu0_hashILj256ELj64ELj1E21rocsparse_complex_numIfEEEviPKiS4_PT2_S4_PiS4_S7_S7_d21rocsparse_index_base_imNS_24const_host_device_scalarIfEENS9_IdEENS9_IS5_EEb.uses_vcc, 1
	.set _ZN9rocsparseL12csrilu0_hashILj256ELj64ELj1E21rocsparse_complex_numIfEEEviPKiS4_PT2_S4_PiS4_S7_S7_d21rocsparse_index_base_imNS_24const_host_device_scalarIfEENS9_IdEENS9_IS5_EEb.uses_flat_scratch, 0
	.set _ZN9rocsparseL12csrilu0_hashILj256ELj64ELj1E21rocsparse_complex_numIfEEEviPKiS4_PT2_S4_PiS4_S7_S7_d21rocsparse_index_base_imNS_24const_host_device_scalarIfEENS9_IdEENS9_IS5_EEb.has_dyn_sized_stack, 0
	.set _ZN9rocsparseL12csrilu0_hashILj256ELj64ELj1E21rocsparse_complex_numIfEEEviPKiS4_PT2_S4_PiS4_S7_S7_d21rocsparse_index_base_imNS_24const_host_device_scalarIfEENS9_IdEENS9_IS5_EEb.has_recursion, 0
	.set _ZN9rocsparseL12csrilu0_hashILj256ELj64ELj1E21rocsparse_complex_numIfEEEviPKiS4_PT2_S4_PiS4_S7_S7_d21rocsparse_index_base_imNS_24const_host_device_scalarIfEENS9_IdEENS9_IS5_EEb.has_indirect_call, 0
	.section	.AMDGPU.csdata,"",@progbits
; Kernel info:
; codeLenInByte = 3076
; TotalNumSgprs: 66
; NumVgprs: 31
; ScratchSize: 0
; MemoryBound: 0
; FloatMode: 240
; IeeeMode: 1
; LDSByteSize: 2048 bytes/workgroup (compile time only)
; SGPRBlocks: 8
; VGPRBlocks: 7
; NumSGPRsForWavesPerEU: 66
; NumVGPRsForWavesPerEU: 31
; Occupancy: 8
; WaveLimiterHint : 1
; COMPUTE_PGM_RSRC2:SCRATCH_EN: 0
; COMPUTE_PGM_RSRC2:USER_SGPR: 6
; COMPUTE_PGM_RSRC2:TRAP_HANDLER: 0
; COMPUTE_PGM_RSRC2:TGID_X_EN: 1
; COMPUTE_PGM_RSRC2:TGID_Y_EN: 0
; COMPUTE_PGM_RSRC2:TGID_Z_EN: 0
; COMPUTE_PGM_RSRC2:TIDIG_COMP_CNT: 0
	.section	.text._ZN9rocsparseL12csrilu0_hashILj256ELj64ELj2E21rocsparse_complex_numIfEEEviPKiS4_PT2_S4_PiS4_S7_S7_d21rocsparse_index_base_imNS_24const_host_device_scalarIfEENS9_IdEENS9_IS5_EEb,"axG",@progbits,_ZN9rocsparseL12csrilu0_hashILj256ELj64ELj2E21rocsparse_complex_numIfEEEviPKiS4_PT2_S4_PiS4_S7_S7_d21rocsparse_index_base_imNS_24const_host_device_scalarIfEENS9_IdEENS9_IS5_EEb,comdat
	.globl	_ZN9rocsparseL12csrilu0_hashILj256ELj64ELj2E21rocsparse_complex_numIfEEEviPKiS4_PT2_S4_PiS4_S7_S7_d21rocsparse_index_base_imNS_24const_host_device_scalarIfEENS9_IdEENS9_IS5_EEb ; -- Begin function _ZN9rocsparseL12csrilu0_hashILj256ELj64ELj2E21rocsparse_complex_numIfEEEviPKiS4_PT2_S4_PiS4_S7_S7_d21rocsparse_index_base_imNS_24const_host_device_scalarIfEENS9_IdEENS9_IS5_EEb
	.p2align	8
	.type	_ZN9rocsparseL12csrilu0_hashILj256ELj64ELj2E21rocsparse_complex_numIfEEEviPKiS4_PT2_S4_PiS4_S7_S7_d21rocsparse_index_base_imNS_24const_host_device_scalarIfEENS9_IdEENS9_IS5_EEb,@function
_ZN9rocsparseL12csrilu0_hashILj256ELj64ELj2E21rocsparse_complex_numIfEEEviPKiS4_PT2_S4_PiS4_S7_S7_d21rocsparse_index_base_imNS_24const_host_device_scalarIfEENS9_IdEENS9_IS5_EEb: ; @_ZN9rocsparseL12csrilu0_hashILj256ELj64ELj2E21rocsparse_complex_numIfEEEviPKiS4_PT2_S4_PiS4_S7_S7_d21rocsparse_index_base_imNS_24const_host_device_scalarIfEENS9_IdEENS9_IS5_EEb
; %bb.0:
	s_load_dword s0, s[4:5], 0x78
	s_load_dwordx2 s[34:35], s[4:5], 0x50
	s_load_dwordx8 s[24:31], s[4:5], 0x58
	s_waitcnt lgkmcnt(0)
	s_bitcmp1_b32 s0, 0
	s_cselect_b64 s[2:3], -1, 0
	s_cmp_eq_u32 s35, 0
	s_cselect_b64 s[12:13], -1, 0
	s_cmp_lg_u32 s35, 0
	s_cselect_b64 s[8:9], -1, 0
	s_or_b64 s[14:15], s[12:13], s[2:3]
	s_xor_b64 s[0:1], s[14:15], -1
	s_and_b64 s[10:11], s[12:13], exec
	s_cselect_b32 s11, 0, s29
	s_cselect_b32 s10, 0, s28
	s_and_b64 vcc, exec, s[14:15]
	s_cbranch_vccnz .LBB34_2
; %bb.1:
	s_load_dword s7, s[26:27], 0x0
	s_mov_b64 s[10:11], s[28:29]
	s_waitcnt lgkmcnt(0)
	v_mov_b32_e32 v18, s7
	v_mov_b32_e32 v3, s10
	s_andn2_b64 vcc, exec, s[0:1]
	v_mov_b32_e32 v4, s11
	s_cbranch_vccz .LBB34_3
	s_branch .LBB34_4
.LBB34_2:
	v_mov_b32_e32 v1, s26
	v_cndmask_b32_e64 v18, v1, 0, s[12:13]
	v_mov_b32_e32 v3, s10
	s_andn2_b64 vcc, exec, s[0:1]
	v_mov_b32_e32 v4, s11
	s_cbranch_vccnz .LBB34_4
.LBB34_3:
	v_mov_b32_e32 v1, s28
	v_mov_b32_e32 v2, s29
	flat_load_dwordx2 v[3:4], v[1:2]
.LBB34_4:
	v_cndmask_b32_e64 v1, 0, 1, s[8:9]
	s_mov_b32 s33, 0
	v_cmp_ne_u32_e64 s[0:1], 1, v1
	s_andn2_b64 vcc, exec, s[8:9]
	s_mov_b32 s35, 0
	s_cbranch_vccnz .LBB34_10
; %bb.5:
	s_xor_b64 s[8:9], s[2:3], -1
	v_cndmask_b32_e64 v1, 0, 1, s[8:9]
	v_cmp_ne_u32_e64 s[2:3], 1, v1
	s_andn2_b64 vcc, exec, s[8:9]
	s_mov_b32 s33, s30
	s_cbranch_vccnz .LBB34_7
; %bb.6:
	s_load_dword s33, s[30:31], 0x0
.LBB34_7:
	s_and_b64 vcc, exec, s[2:3]
	s_cbranch_vccnz .LBB34_9
; %bb.8:
	s_load_dword s31, s[30:31], 0x4
.LBB34_9:
	s_waitcnt lgkmcnt(0)
	s_mov_b32 s35, s31
.LBB34_10:
	v_and_b32_e32 v17, 63, v0
	v_lshrrev_b32_e32 v1, 6, v0
	v_lshlrev_b32_e32 v5, 9, v1
	v_lshlrev_b32_e32 v6, 2, v17
	s_movk_i32 s2, 0x800
	v_or_b32_e32 v2, 0xffffffc0, v17
	v_or3_b32 v5, v5, v6, s2
	s_mov_b64 s[2:3], 0
	v_mov_b32_e32 v6, -1
.LBB34_11:                              ; =>This Inner Loop Header: Depth=1
	v_add_co_u32_e32 v2, vcc, 64, v2
	s_xor_b64 s[8:9], vcc, -1
	s_and_b64 s[8:9], exec, s[8:9]
	ds_write_b32 v5, v6
	s_or_b64 s[2:3], s[8:9], s[2:3]
	v_add_u32_e32 v5, 0x100, v5
	s_andn2_b64 exec, exec, s[2:3]
	s_cbranch_execnz .LBB34_11
; %bb.12:
	s_or_b64 exec, exec, s[2:3]
	s_load_dword s2, s[4:5], 0x0
	s_lshl_b32 s3, s6, 2
	s_and_b32 s3, s3, 0x3fffffc
	v_or_b32_e32 v1, s3, v1
	s_waitcnt lgkmcnt(0)
	v_cmp_gt_i32_e32 vcc, s2, v1
	s_and_saveexec_b64 s[2:3], vcc
	s_cbranch_execz .LBB34_90
; %bb.13:
	s_load_dwordx16 s[8:23], s[4:5], 0x8
	v_lshlrev_b32_e32 v1, 2, v1
	v_lshlrev_b32_e32 v0, 3, v0
	v_and_b32_e32 v0, 0x600, v0
	v_or_b32_e32 v19, 0x800, v0
	s_waitcnt lgkmcnt(0)
	global_load_dword v5, v1, s[18:19]
	v_mov_b32_e32 v7, s9
	v_mov_b32_e32 v10, s15
	s_waitcnt vmcnt(0)
	v_ashrrev_i32_e32 v6, 31, v5
	v_lshlrev_b64 v[1:2], 2, v[5:6]
	v_add_co_u32_e32 v6, vcc, s8, v1
	v_addc_co_u32_e32 v7, vcc, v7, v2, vcc
	global_load_dwordx2 v[7:8], v[6:7], off
	v_add_co_u32_e32 v9, vcc, s14, v1
	v_addc_co_u32_e32 v10, vcc, v10, v2, vcc
	global_load_dword v6, v[9:10], off
	s_waitcnt vmcnt(1)
	v_subrev_u32_e32 v7, s34, v7
	v_subrev_u32_e32 v10, s34, v8
	v_add_u32_e32 v8, v7, v17
	v_cmp_lt_i32_e32 vcc, v8, v10
	s_and_saveexec_b64 s[2:3], vcc
	s_cbranch_execz .LBB34_36
; %bb.14:
	s_mov_b64 s[6:7], 0
	v_mov_b32_e32 v11, s11
	s_movk_i32 s56, 0x67
	v_mov_b32_e32 v12, -1
	s_branch .LBB34_16
.LBB34_15:                              ;   in Loop: Header=BB34_16 Depth=1
	s_or_b64 exec, exec, s[18:19]
	v_add_u32_e32 v8, 64, v8
	v_cmp_ge_i32_e32 vcc, v8, v10
	s_or_b64 s[6:7], vcc, s[6:7]
	s_andn2_b64 exec, exec, s[6:7]
	s_cbranch_execz .LBB34_36
.LBB34_16:                              ; =>This Loop Header: Depth=1
                                        ;     Child Loop BB34_25 Depth 2
	v_ashrrev_i32_e32 v9, 31, v8
	v_lshlrev_b64 v[13:14], 2, v[8:9]
	s_mov_b64 s[26:27], 0
	v_add_co_u32_e32 v13, vcc, s10, v13
	v_addc_co_u32_e32 v14, vcc, v11, v14, vcc
	global_load_dword v9, v[13:14], off
	v_mov_b32_e32 v13, 0x80
                                        ; implicit-def: $sgpr18_sgpr19
                                        ; implicit-def: $sgpr28_sgpr29
                                        ; implicit-def: $sgpr30_sgpr31
	s_waitcnt vmcnt(0)
	v_mul_lo_u32 v15, v9, s56
	s_branch .LBB34_25
.LBB34_17:                              ;   in Loop: Header=BB34_25 Depth=2
	s_or_b64 exec, exec, s[54:55]
	s_orn2_b64 s[50:51], s[50:51], exec
	s_orn2_b64 s[52:53], s[52:53], exec
.LBB34_18:                              ;   in Loop: Header=BB34_25 Depth=2
	s_or_b64 exec, exec, s[48:49]
	s_and_b64 s[50:51], s[50:51], exec
	s_orn2_b64 s[48:49], s[52:53], exec
.LBB34_19:                              ;   in Loop: Header=BB34_25 Depth=2
	s_or_b64 exec, exec, s[46:47]
	s_orn2_b64 s[50:51], s[50:51], exec
	s_orn2_b64 s[46:47], s[48:49], exec
.LBB34_20:                              ;   in Loop: Header=BB34_25 Depth=2
	s_or_b64 exec, exec, s[44:45]
	s_and_b64 s[48:49], s[50:51], exec
	s_orn2_b64 s[44:45], s[46:47], exec
.LBB34_21:                              ;   in Loop: Header=BB34_25 Depth=2
	s_or_b64 exec, exec, s[42:43]
	s_orn2_b64 s[42:43], s[48:49], exec
	s_orn2_b64 s[44:45], s[44:45], exec
.LBB34_22:                              ;   in Loop: Header=BB34_25 Depth=2
	s_or_b64 exec, exec, s[40:41]
	s_and_b64 s[42:43], s[42:43], exec
	s_orn2_b64 s[40:41], s[44:45], exec
.LBB34_23:                              ;   in Loop: Header=BB34_25 Depth=2
	s_or_b64 exec, exec, s[38:39]
	s_andn2_b64 s[30:31], s[30:31], exec
	s_and_b64 s[38:39], s[42:43], exec
	s_or_b64 s[30:31], s[30:31], s[38:39]
	s_andn2_b64 s[28:29], s[28:29], exec
	s_and_b64 s[38:39], s[40:41], exec
	s_or_b64 s[28:29], s[28:29], s[38:39]
.LBB34_24:                              ;   in Loop: Header=BB34_25 Depth=2
	s_or_b64 exec, exec, s[36:37]
	s_and_b64 s[36:37], exec, s[28:29]
	s_or_b64 s[26:27], s[36:37], s[26:27]
	s_andn2_b64 s[18:19], s[18:19], exec
	s_and_b64 s[36:37], s[30:31], exec
	s_or_b64 s[18:19], s[18:19], s[36:37]
	s_andn2_b64 exec, exec, s[26:27]
	s_cbranch_execz .LBB34_34
.LBB34_25:                              ;   Parent Loop BB34_16 Depth=1
                                        ; =>  This Inner Loop Header: Depth=2
	v_and_b32_e32 v14, 0x7f, v15
	v_lshl_add_u32 v16, v14, 2, v19
	ds_read_b32 v20, v16
	s_or_b64 s[30:31], s[30:31], exec
	s_or_b64 s[28:29], s[28:29], exec
	s_waitcnt lgkmcnt(0)
	v_cmp_ne_u32_e32 vcc, v20, v9
	s_and_saveexec_b64 s[36:37], vcc
	s_cbranch_execz .LBB34_24
; %bb.26:                               ;   in Loop: Header=BB34_25 Depth=2
	ds_cmpst_rtn_b32 v16, v16, v12, v9
	s_mov_b64 s[40:41], -1
	s_mov_b64 s[42:43], 0
	s_waitcnt lgkmcnt(0)
	v_cmp_ne_u32_e32 vcc, -1, v16
	s_and_saveexec_b64 s[38:39], vcc
	s_cbranch_execz .LBB34_23
; %bb.27:                               ;   in Loop: Header=BB34_25 Depth=2
	v_add_u32_e32 v14, 1, v15
	v_and_b32_e32 v14, 0x7f, v14
	v_lshl_add_u32 v16, v14, 2, v19
	ds_read_b32 v20, v16
	s_mov_b64 s[44:45], -1
	s_mov_b64 s[42:43], -1
	s_waitcnt lgkmcnt(0)
	v_cmp_ne_u32_e32 vcc, v20, v9
	s_and_saveexec_b64 s[40:41], vcc
	s_cbranch_execz .LBB34_22
; %bb.28:                               ;   in Loop: Header=BB34_25 Depth=2
	ds_cmpst_rtn_b32 v16, v16, v12, v9
	s_mov_b64 s[48:49], 0
	s_waitcnt lgkmcnt(0)
	v_cmp_ne_u32_e32 vcc, -1, v16
	s_and_saveexec_b64 s[42:43], vcc
	s_cbranch_execz .LBB34_21
; %bb.29:                               ;   in Loop: Header=BB34_25 Depth=2
	v_add_u32_e32 v14, 2, v15
	v_and_b32_e32 v14, 0x7f, v14
	v_lshl_add_u32 v16, v14, 2, v19
	ds_read_b32 v20, v16
	s_mov_b64 s[46:47], -1
	s_mov_b64 s[50:51], -1
	s_waitcnt lgkmcnt(0)
	v_cmp_ne_u32_e32 vcc, v20, v9
	s_and_saveexec_b64 s[44:45], vcc
	s_cbranch_execz .LBB34_20
; %bb.30:                               ;   in Loop: Header=BB34_25 Depth=2
	ds_cmpst_rtn_b32 v16, v16, v12, v9
	s_mov_b64 s[48:49], -1
	s_mov_b64 s[50:51], 0
	s_waitcnt lgkmcnt(0)
	v_cmp_ne_u32_e32 vcc, -1, v16
	s_and_saveexec_b64 s[46:47], vcc
	s_cbranch_execz .LBB34_19
; %bb.31:                               ;   in Loop: Header=BB34_25 Depth=2
	v_add_u32_e32 v14, 3, v15
	v_and_b32_e32 v14, 0x7f, v14
	v_lshl_add_u32 v16, v14, 2, v19
	ds_read_b32 v15, v16
	s_mov_b64 s[52:53], -1
	s_mov_b64 s[50:51], -1
	s_waitcnt lgkmcnt(0)
	v_cmp_ne_u32_e32 vcc, v15, v9
                                        ; implicit-def: $vgpr15
	s_and_saveexec_b64 s[48:49], vcc
	s_cbranch_execz .LBB34_18
; %bb.32:                               ;   in Loop: Header=BB34_25 Depth=2
	ds_cmpst_rtn_b32 v15, v16, v12, v9
	s_mov_b64 s[50:51], 0
	s_waitcnt lgkmcnt(0)
	v_cmp_ne_u32_e32 vcc, -1, v15
                                        ; implicit-def: $vgpr15
	s_and_saveexec_b64 s[54:55], vcc
	s_cbranch_execz .LBB34_17
; %bb.33:                               ;   in Loop: Header=BB34_25 Depth=2
	v_add_u32_e32 v13, -4, v13
	v_cmp_eq_u32_e32 vcc, 0, v13
	s_mov_b64 s[50:51], exec
	v_add_u32_e32 v15, 1, v14
	s_orn2_b64 s[52:53], vcc, exec
	s_branch .LBB34_17
.LBB34_34:                              ;   in Loop: Header=BB34_16 Depth=1
	s_or_b64 exec, exec, s[26:27]
	s_xor_b64 s[18:19], s[18:19], -1
	s_and_saveexec_b64 s[26:27], s[18:19]
	s_xor_b64 s[18:19], exec, s[26:27]
	s_cbranch_execz .LBB34_15
; %bb.35:                               ;   in Loop: Header=BB34_16 Depth=1
	v_lshl_add_u32 v9, v14, 2, v0
	ds_write_b32 v9, v8
	s_branch .LBB34_15
.LBB34_36:
	s_or_b64 exec, exec, s[2:3]
	s_waitcnt vmcnt(0)
	v_cmp_lt_i32_e32 vcc, v7, v6
	s_waitcnt lgkmcnt(0)
	s_and_saveexec_b64 s[6:7], vcc
	s_cbranch_execz .LBB34_66
; %bb.37:
	v_add_u32_e32 v20, 1, v17
	s_mov_b64 s[18:19], 0
	v_mov_b32_e32 v21, s11
	v_mov_b32_e32 v22, s13
	;; [unrolled: 1-line block ×5, first 2 shown]
	s_movk_i32 s9, 0x67
	s_branch .LBB34_40
.LBB34_38:                              ;   in Loop: Header=BB34_40 Depth=1
	s_or_b64 exec, exec, s[26:27]
	v_add_u32_e32 v7, 1, v7
	v_cmp_ge_i32_e32 vcc, v7, v6
	s_orn2_b64 s[26:27], vcc, exec
.LBB34_39:                              ;   in Loop: Header=BB34_40 Depth=1
	s_or_b64 exec, exec, s[2:3]
	s_and_b64 s[2:3], exec, s[26:27]
	s_or_b64 s[18:19], s[2:3], s[18:19]
	s_andn2_b64 exec, exec, s[18:19]
	s_cbranch_execz .LBB34_66
.LBB34_40:                              ; =>This Loop Header: Depth=1
                                        ;     Child Loop BB34_41 Depth 2
                                        ;     Child Loop BB34_46 Depth 2
                                        ;       Child Loop BB34_55 Depth 3
	v_ashrrev_i32_e32 v8, 31, v7
	v_lshlrev_b64 v[9:10], 2, v[7:8]
	s_mov_b64 s[2:3], 0
	v_add_co_u32_e32 v9, vcc, s10, v9
	v_addc_co_u32_e32 v10, vcc, v21, v10, vcc
	global_load_dword v11, v[9:10], off
	v_lshlrev_b64 v[8:9], 3, v[7:8]
	v_add_co_u32_e32 v12, vcc, s12, v8
	v_addc_co_u32_e32 v13, vcc, v22, v9, vcc
	global_load_dwordx2 v[9:10], v[12:13], off
	s_waitcnt vmcnt(1)
	v_subrev_u32_e32 v14, s34, v11
	v_ashrrev_i32_e32 v15, 31, v14
	v_lshlrev_b64 v[14:15], 2, v[14:15]
	v_add_co_u32_e32 v26, vcc, s8, v14
	v_addc_co_u32_e32 v27, vcc, v23, v15, vcc
	v_add_co_u32_e32 v28, vcc, s14, v14
	v_addc_co_u32_e32 v29, vcc, v24, v15, vcc
	global_load_dword v8, v[26:27], off offset:4
	global_load_dword v11, v[28:29], off
	v_add_co_u32_e32 v14, vcc, s16, v14
	v_addc_co_u32_e32 v15, vcc, v25, v15, vcc
.LBB34_41:                              ;   Parent Loop BB34_40 Depth=1
                                        ; =>  This Inner Loop Header: Depth=2
	global_load_dword v16, v[14:15], off glc
	s_waitcnt vmcnt(0)
	v_cmp_ne_u32_e32 vcc, 0, v16
	s_or_b64 s[2:3], vcc, s[2:3]
	s_andn2_b64 exec, exec, s[2:3]
	s_cbranch_execnz .LBB34_41
; %bb.42:                               ;   in Loop: Header=BB34_40 Depth=1
	s_or_b64 exec, exec, s[2:3]
	v_subrev_u32_e32 v26, s34, v8
	v_add_u32_e32 v8, -1, v26
	v_cmp_eq_u32_e32 vcc, -1, v11
	v_cndmask_b32_e32 v14, v11, v8, vcc
	v_ashrrev_i32_e32 v15, 31, v14
	v_lshlrev_b64 v[15:16], 3, v[14:15]
	buffer_wbinvl1_vol
	v_add_co_u32_e32 v15, vcc, s12, v15
	v_addc_co_u32_e32 v16, vcc, v22, v16, vcc
	global_load_dwordx2 v[15:16], v[15:16], off
	s_mov_b64 s[26:27], -1
	s_waitcnt vmcnt(0)
	v_cmp_neq_f32_e32 vcc, 0, v15
	v_cmp_neq_f32_e64 s[2:3], 0, v16
	s_or_b64 s[28:29], vcc, s[2:3]
	s_and_saveexec_b64 s[2:3], s[28:29]
	s_cbranch_execz .LBB34_39
; %bb.43:                               ;   in Loop: Header=BB34_40 Depth=1
	v_mul_f32_e32 v11, v16, v16
	v_fmac_f32_e32 v11, v15, v15
	v_div_scale_f32 v8, s[26:27], v11, v11, 1.0
	v_div_scale_f32 v27, vcc, 1.0, v11, 1.0
	v_rcp_f32_e32 v28, v8
	v_fma_f32 v29, -v8, v28, 1.0
	v_fmac_f32_e32 v28, v29, v28
	v_mul_f32_e32 v29, v27, v28
	v_fma_f32 v30, -v8, v29, v27
	v_fmac_f32_e32 v29, v30, v28
	v_fma_f32 v8, -v8, v29, v27
	v_div_fmas_f32 v27, v8, v28, v29
	v_mul_f32_e32 v28, v10, v16
	v_mul_f32_e64 v16, v16, -v9
	v_add_u32_e32 v8, v20, v14
	v_fmac_f32_e32 v28, v9, v15
	v_fmac_f32_e32 v16, v10, v15
	v_cmp_lt_i32_e32 vcc, v8, v26
	v_div_fixup_f32 v9, v27, v11, 1.0
	v_mul_f32_e32 v10, v28, v9
	v_mul_f32_e32 v11, v16, v9
	global_store_dwordx2 v[12:13], v[10:11], off
	s_and_saveexec_b64 s[26:27], vcc
	s_cbranch_execz .LBB34_38
; %bb.44:                               ;   in Loop: Header=BB34_40 Depth=1
	s_mov_b64 s[28:29], 0
	s_branch .LBB34_46
.LBB34_45:                              ;   in Loop: Header=BB34_46 Depth=2
	s_or_b64 exec, exec, s[30:31]
	v_add_u32_e32 v8, 64, v8
	v_cmp_ge_i32_e32 vcc, v8, v26
	s_or_b64 s[28:29], vcc, s[28:29]
	s_andn2_b64 exec, exec, s[28:29]
	s_cbranch_execz .LBB34_38
.LBB34_46:                              ;   Parent Loop BB34_40 Depth=1
                                        ; =>  This Loop Header: Depth=2
                                        ;       Child Loop BB34_55 Depth 3
	v_ashrrev_i32_e32 v9, 31, v8
	v_lshlrev_b64 v[12:13], 2, v[8:9]
	s_mov_b64 s[36:37], 0
	v_add_co_u32_e32 v12, vcc, s10, v12
	v_addc_co_u32_e32 v13, vcc, v21, v13, vcc
	global_load_dword v12, v[12:13], off
	v_mov_b32_e32 v13, 0x80
                                        ; implicit-def: $sgpr30_sgpr31
                                        ; implicit-def: $sgpr38_sgpr39
                                        ; implicit-def: $sgpr40_sgpr41
	s_waitcnt vmcnt(0)
	v_mul_lo_u32 v15, v12, s9
	s_branch .LBB34_55
.LBB34_47:                              ;   in Loop: Header=BB34_55 Depth=3
	s_or_b64 exec, exec, s[60:61]
	s_orn2_b64 s[56:57], s[56:57], exec
	s_orn2_b64 s[58:59], s[58:59], exec
.LBB34_48:                              ;   in Loop: Header=BB34_55 Depth=3
	s_or_b64 exec, exec, s[54:55]
	s_and_b64 s[56:57], s[56:57], exec
	s_orn2_b64 s[54:55], s[58:59], exec
.LBB34_49:                              ;   in Loop: Header=BB34_55 Depth=3
	s_or_b64 exec, exec, s[52:53]
	s_orn2_b64 s[56:57], s[56:57], exec
	s_orn2_b64 s[52:53], s[54:55], exec
.LBB34_50:                              ;   in Loop: Header=BB34_55 Depth=3
	s_or_b64 exec, exec, s[50:51]
	s_and_b64 s[54:55], s[56:57], exec
	s_orn2_b64 s[50:51], s[52:53], exec
.LBB34_51:                              ;   in Loop: Header=BB34_55 Depth=3
	s_or_b64 exec, exec, s[48:49]
	s_orn2_b64 s[48:49], s[54:55], exec
	s_orn2_b64 s[50:51], s[50:51], exec
.LBB34_52:                              ;   in Loop: Header=BB34_55 Depth=3
	s_or_b64 exec, exec, s[46:47]
	s_and_b64 s[48:49], s[48:49], exec
	s_orn2_b64 s[46:47], s[50:51], exec
.LBB34_53:                              ;   in Loop: Header=BB34_55 Depth=3
	s_or_b64 exec, exec, s[44:45]
	s_andn2_b64 s[40:41], s[40:41], exec
	s_and_b64 s[44:45], s[48:49], exec
	s_or_b64 s[40:41], s[40:41], s[44:45]
	s_andn2_b64 s[38:39], s[38:39], exec
	s_and_b64 s[44:45], s[46:47], exec
	s_or_b64 s[38:39], s[38:39], s[44:45]
.LBB34_54:                              ;   in Loop: Header=BB34_55 Depth=3
	s_or_b64 exec, exec, s[42:43]
	s_and_b64 s[42:43], exec, s[38:39]
	s_or_b64 s[36:37], s[42:43], s[36:37]
	s_andn2_b64 s[30:31], s[30:31], exec
	s_and_b64 s[42:43], s[40:41], exec
	s_or_b64 s[30:31], s[30:31], s[42:43]
	s_andn2_b64 exec, exec, s[36:37]
	s_cbranch_execz .LBB34_64
.LBB34_55:                              ;   Parent Loop BB34_40 Depth=1
                                        ;     Parent Loop BB34_46 Depth=2
                                        ; =>    This Inner Loop Header: Depth=3
	v_and_b32_e32 v14, 0x7f, v15
	v_lshl_add_u32 v16, v14, 2, v19
	ds_read_b32 v16, v16
	s_or_b64 s[40:41], s[40:41], exec
	s_or_b64 s[38:39], s[38:39], exec
	s_waitcnt lgkmcnt(0)
	v_cmp_ne_u32_e32 vcc, -1, v16
	s_and_saveexec_b64 s[42:43], vcc
	s_cbranch_execz .LBB34_54
; %bb.56:                               ;   in Loop: Header=BB34_55 Depth=3
	v_cmp_ne_u32_e32 vcc, v16, v12
	s_mov_b64 s[46:47], -1
	s_mov_b64 s[48:49], 0
	s_and_saveexec_b64 s[44:45], vcc
	s_cbranch_execz .LBB34_53
; %bb.57:                               ;   in Loop: Header=BB34_55 Depth=3
	v_add_u32_e32 v14, 1, v15
	v_and_b32_e32 v14, 0x7f, v14
	v_lshl_add_u32 v16, v14, 2, v19
	ds_read_b32 v16, v16
	s_mov_b64 s[50:51], -1
	s_mov_b64 s[48:49], -1
	s_waitcnt lgkmcnt(0)
	v_cmp_ne_u32_e32 vcc, -1, v16
	s_and_saveexec_b64 s[46:47], vcc
	s_cbranch_execz .LBB34_52
; %bb.58:                               ;   in Loop: Header=BB34_55 Depth=3
	v_cmp_ne_u32_e32 vcc, v16, v12
	s_mov_b64 s[54:55], 0
	s_and_saveexec_b64 s[48:49], vcc
	s_cbranch_execz .LBB34_51
; %bb.59:                               ;   in Loop: Header=BB34_55 Depth=3
	v_add_u32_e32 v14, 2, v15
	v_and_b32_e32 v14, 0x7f, v14
	v_lshl_add_u32 v16, v14, 2, v19
	ds_read_b32 v16, v16
	s_mov_b64 s[52:53], -1
	s_mov_b64 s[56:57], -1
	s_waitcnt lgkmcnt(0)
	v_cmp_ne_u32_e32 vcc, -1, v16
	s_and_saveexec_b64 s[50:51], vcc
	s_cbranch_execz .LBB34_50
; %bb.60:                               ;   in Loop: Header=BB34_55 Depth=3
	v_cmp_ne_u32_e32 vcc, v16, v12
	s_mov_b64 s[54:55], -1
	s_mov_b64 s[56:57], 0
	s_and_saveexec_b64 s[52:53], vcc
	s_cbranch_execz .LBB34_49
; %bb.61:                               ;   in Loop: Header=BB34_55 Depth=3
	v_add_u32_e32 v14, 3, v15
	v_and_b32_e32 v14, 0x7f, v14
	v_lshl_add_u32 v15, v14, 2, v19
	ds_read_b32 v16, v15
	s_mov_b64 s[58:59], -1
	s_mov_b64 s[56:57], -1
                                        ; implicit-def: $vgpr15
	s_waitcnt lgkmcnt(0)
	v_cmp_ne_u32_e32 vcc, -1, v16
	s_and_saveexec_b64 s[54:55], vcc
	s_cbranch_execz .LBB34_48
; %bb.62:                               ;   in Loop: Header=BB34_55 Depth=3
	v_cmp_ne_u32_e32 vcc, v16, v12
	s_mov_b64 s[56:57], 0
                                        ; implicit-def: $vgpr15
	s_and_saveexec_b64 s[60:61], vcc
	s_cbranch_execz .LBB34_47
; %bb.63:                               ;   in Loop: Header=BB34_55 Depth=3
	v_add_u32_e32 v13, -4, v13
	v_cmp_eq_u32_e32 vcc, 0, v13
	s_mov_b64 s[56:57], exec
	v_add_u32_e32 v15, 1, v14
	s_orn2_b64 s[58:59], vcc, exec
	s_branch .LBB34_47
.LBB34_64:                              ;   in Loop: Header=BB34_46 Depth=2
	s_or_b64 exec, exec, s[36:37]
	s_xor_b64 s[30:31], s[30:31], -1
	s_and_saveexec_b64 s[36:37], s[30:31]
	s_xor_b64 s[30:31], exec, s[36:37]
	s_cbranch_execz .LBB34_45
; %bb.65:                               ;   in Loop: Header=BB34_46 Depth=2
	v_lshl_add_u32 v12, v14, 2, v0
	ds_read_b32 v12, v12
	v_lshlrev_b64 v[14:15], 3, v[8:9]
	v_mov_b32_e32 v9, s13
	v_add_co_u32_e32 v14, vcc, s12, v14
	s_waitcnt lgkmcnt(0)
	v_ashrrev_i32_e32 v13, 31, v12
	v_lshlrev_b64 v[12:13], 3, v[12:13]
	v_addc_co_u32_e32 v15, vcc, v9, v15, vcc
	v_add_co_u32_e32 v12, vcc, s12, v12
	v_addc_co_u32_e32 v13, vcc, v9, v13, vcc
	global_load_dwordx2 v[27:28], v[14:15], off
	global_load_dwordx2 v[29:30], v[12:13], off
	s_waitcnt vmcnt(0)
	v_fma_f32 v14, -v10, v27, v29
	v_fma_f32 v9, -v11, v27, v30
	v_fmac_f32_e32 v14, v11, v28
	v_fma_f32 v15, -v10, v28, v9
	global_store_dwordx2 v[12:13], v[14:15], off
	s_branch .LBB34_45
.LBB34_66:
	s_or_b64 exec, exec, s[6:7]
	v_cmp_lt_i32_e32 vcc, -1, v6
	s_and_saveexec_b64 s[6:7], vcc
	s_cbranch_execz .LBB34_88
; %bb.67:
	v_mov_b32_e32 v7, 0
	v_lshlrev_b64 v[8:9], 3, v[6:7]
	v_mov_b32_e32 v0, s13
	v_add_co_u32_e32 v10, vcc, s12, v8
	v_addc_co_u32_e32 v11, vcc, v0, v9, vcc
	global_load_dwordx2 v[8:9], v[10:11], off
	s_waitcnt vmcnt(0)
	v_cmp_gt_f32_e32 vcc, 0, v8
	v_cndmask_b32_e64 v0, v8, -v8, vcc
	v_cmp_gt_f32_e32 vcc, 0, v9
	v_cndmask_b32_e64 v6, v9, -v9, vcc
	v_cmp_ngt_f32_e32 vcc, v0, v6
	s_and_saveexec_b64 s[2:3], vcc
	s_xor_b64 s[8:9], exec, s[2:3]
	s_cbranch_execz .LBB34_71
; %bb.68:
	v_cmp_neq_f32_e32 vcc, 0, v9
	s_and_saveexec_b64 s[10:11], vcc
	s_cbranch_execz .LBB34_70
; %bb.69:
	v_div_scale_f32 v7, s[2:3], v6, v6, v0
	v_div_scale_f32 v12, vcc, v0, v6, v0
	s_mov_b32 s2, 0xf800000
	v_rcp_f32_e32 v13, v7
	v_fma_f32 v14, -v7, v13, 1.0
	v_fmac_f32_e32 v13, v14, v13
	v_mul_f32_e32 v14, v12, v13
	v_fma_f32 v15, -v7, v14, v12
	v_fmac_f32_e32 v14, v15, v13
	v_fma_f32 v7, -v7, v14, v12
	v_div_fmas_f32 v7, v7, v13, v14
	v_mov_b32_e32 v12, 0x260
	v_div_fixup_f32 v0, v7, v6, v0
	v_fma_f32 v0, v0, v0, 1.0
	v_mul_f32_e32 v7, 0x4f800000, v0
	v_cmp_gt_f32_e32 vcc, s2, v0
	v_cndmask_b32_e32 v0, v0, v7, vcc
	v_sqrt_f32_e32 v7, v0
	v_add_u32_e32 v13, -1, v7
	v_add_u32_e32 v14, 1, v7
	v_fma_f32 v15, -v13, v7, v0
	v_fma_f32 v16, -v14, v7, v0
	v_cmp_ge_f32_e64 s[2:3], 0, v15
	v_cndmask_b32_e64 v7, v7, v13, s[2:3]
	v_cmp_lt_f32_e64 s[2:3], 0, v16
	v_cndmask_b32_e64 v7, v7, v14, s[2:3]
	v_mul_f32_e32 v13, 0x37800000, v7
	v_cndmask_b32_e32 v7, v7, v13, vcc
	v_cmp_class_f32_e32 vcc, v0, v12
	v_cndmask_b32_e32 v0, v7, v0, vcc
	v_mul_f32_e32 v7, v6, v0
.LBB34_70:
	s_or_b64 exec, exec, s[10:11]
                                        ; implicit-def: $vgpr0
                                        ; implicit-def: $vgpr6
.LBB34_71:
	s_andn2_saveexec_b64 s[8:9], s[8:9]
	s_cbranch_execz .LBB34_73
; %bb.72:
	v_div_scale_f32 v7, s[2:3], v0, v0, v6
	v_div_scale_f32 v12, vcc, v6, v0, v6
	s_mov_b32 s2, 0xf800000
	v_rcp_f32_e32 v13, v7
	v_fma_f32 v14, -v7, v13, 1.0
	v_fmac_f32_e32 v13, v14, v13
	v_mul_f32_e32 v14, v12, v13
	v_fma_f32 v15, -v7, v14, v12
	v_fmac_f32_e32 v14, v15, v13
	v_fma_f32 v7, -v7, v14, v12
	v_div_fmas_f32 v7, v7, v13, v14
	v_mov_b32_e32 v12, 0x260
	v_div_fixup_f32 v6, v7, v0, v6
	v_fma_f32 v6, v6, v6, 1.0
	v_mul_f32_e32 v7, 0x4f800000, v6
	v_cmp_gt_f32_e32 vcc, s2, v6
	v_cndmask_b32_e32 v6, v6, v7, vcc
	v_sqrt_f32_e32 v7, v6
	v_add_u32_e32 v13, -1, v7
	v_add_u32_e32 v14, 1, v7
	v_fma_f32 v15, -v13, v7, v6
	v_fma_f32 v16, -v14, v7, v6
	v_cmp_ge_f32_e64 s[2:3], 0, v15
	v_cndmask_b32_e64 v7, v7, v13, s[2:3]
	v_cmp_lt_f32_e64 s[2:3], 0, v16
	v_cndmask_b32_e64 v7, v7, v14, s[2:3]
	v_mul_f32_e32 v13, 0x37800000, v7
	v_cndmask_b32_e32 v7, v7, v13, vcc
	v_cmp_class_f32_e32 vcc, v6, v12
	v_cndmask_b32_e32 v6, v7, v6, vcc
	v_mul_f32_e32 v7, v0, v6
.LBB34_73:
	s_or_b64 exec, exec, s[8:9]
	v_cvt_f64_f32_e32 v[6:7], v7
	v_cmp_eq_u32_e64 s[2:3], 0, v17
	s_and_b64 vcc, exec, s[0:1]
	s_mov_b64 s[0:1], -1
	s_cbranch_vccnz .LBB34_77
; %bb.74:
	v_cvt_f64_f32_e32 v[12:13], v18
	s_cmp_eq_u64 s[24:25], 8
	s_cselect_b64 vcc, -1, 0
	v_cndmask_b32_e32 v4, v13, v4, vcc
	v_cndmask_b32_e32 v3, v12, v3, vcc
	v_cmp_ge_f64_e32 vcc, v[3:4], v[6:7]
	s_and_b64 s[8:9], s[2:3], vcc
	s_and_saveexec_b64 s[0:1], s[8:9]
	s_cbranch_execz .LBB34_76
; %bb.75:
	v_mov_b32_e32 v3, s33
	v_mov_b32_e32 v4, s35
	global_store_dwordx2 v[10:11], v[3:4], off
	s_waitcnt vmcnt(0)
	buffer_wbinvl1_vol
.LBB34_76:
	s_or_b64 exec, exec, s[0:1]
	s_mov_b64 s[0:1], 0
.LBB34_77:
	s_andn2_b64 vcc, exec, s[0:1]
	s_cbranch_vccnz .LBB34_88
; %bb.78:
	s_load_dwordx2 s[0:1], s[4:5], 0x48
	v_add_u32_e32 v0, s34, v5
	s_waitcnt lgkmcnt(0)
	v_cmp_ge_f64_e32 vcc, s[0:1], v[6:7]
	s_and_b64 s[4:5], s[2:3], vcc
	s_and_saveexec_b64 s[0:1], s[4:5]
	s_cbranch_execz .LBB34_83
; %bb.79:
	s_mov_b64 s[4:5], exec
	s_brev_b32 s8, -2
.LBB34_80:                              ; =>This Inner Loop Header: Depth=1
	s_ff1_i32_b64 s9, s[4:5]
	v_readlane_b32 s12, v0, s9
	s_lshl_b64 s[10:11], 1, s9
	s_min_i32 s8, s8, s12
	s_andn2_b64 s[4:5], s[4:5], s[10:11]
	s_cmp_lg_u64 s[4:5], 0
	s_cbranch_scc1 .LBB34_80
; %bb.81:
	v_mbcnt_lo_u32_b32 v3, exec_lo, 0
	v_mbcnt_hi_u32_b32 v3, exec_hi, v3
	v_cmp_eq_u32_e32 vcc, 0, v3
	s_and_saveexec_b64 s[4:5], vcc
	s_xor_b64 s[4:5], exec, s[4:5]
	s_cbranch_execz .LBB34_83
; %bb.82:
	v_mov_b32_e32 v3, 0
	v_mov_b32_e32 v4, s8
	global_atomic_smin v3, v4, s[22:23]
.LBB34_83:
	s_or_b64 exec, exec, s[0:1]
	v_cmp_eq_f32_e32 vcc, 0, v8
	v_cmp_eq_f32_e64 s[0:1], 0, v9
	s_and_b64 s[0:1], vcc, s[0:1]
	s_and_b64 s[0:1], s[2:3], s[0:1]
	s_and_b64 exec, exec, s[0:1]
	s_cbranch_execz .LBB34_88
; %bb.84:
	s_mov_b64 s[0:1], exec
	s_brev_b32 s2, -2
.LBB34_85:                              ; =>This Inner Loop Header: Depth=1
	s_ff1_i32_b64 s3, s[0:1]
	v_readlane_b32 s8, v0, s3
	s_lshl_b64 s[4:5], 1, s3
	s_min_i32 s2, s2, s8
	s_andn2_b64 s[0:1], s[0:1], s[4:5]
	s_cmp_lg_u64 s[0:1], 0
	s_cbranch_scc1 .LBB34_85
; %bb.86:
	v_mbcnt_lo_u32_b32 v0, exec_lo, 0
	v_mbcnt_hi_u32_b32 v0, exec_hi, v0
	v_cmp_eq_u32_e32 vcc, 0, v0
	s_and_saveexec_b64 s[0:1], vcc
	s_xor_b64 s[0:1], exec, s[0:1]
	s_cbranch_execz .LBB34_88
; %bb.87:
	v_mov_b32_e32 v0, 0
	v_mov_b32_e32 v3, s2
	global_atomic_smin v0, v3, s[20:21]
.LBB34_88:
	s_or_b64 exec, exec, s[6:7]
	v_cmp_eq_u32_e32 vcc, 0, v17
	s_waitcnt vmcnt(0)
	buffer_wbinvl1_vol
	s_and_b64 exec, exec, vcc
	s_cbranch_execz .LBB34_90
; %bb.89:
	v_mov_b32_e32 v3, s17
	v_add_co_u32_e32 v0, vcc, s16, v1
	v_addc_co_u32_e32 v1, vcc, v3, v2, vcc
	v_mov_b32_e32 v2, 1
	global_store_dword v[0:1], v2, off
.LBB34_90:
	s_endpgm
	.section	.rodata,"a",@progbits
	.p2align	6, 0x0
	.amdhsa_kernel _ZN9rocsparseL12csrilu0_hashILj256ELj64ELj2E21rocsparse_complex_numIfEEEviPKiS4_PT2_S4_PiS4_S7_S7_d21rocsparse_index_base_imNS_24const_host_device_scalarIfEENS9_IdEENS9_IS5_EEb
		.amdhsa_group_segment_fixed_size 4096
		.amdhsa_private_segment_fixed_size 0
		.amdhsa_kernarg_size 124
		.amdhsa_user_sgpr_count 6
		.amdhsa_user_sgpr_private_segment_buffer 1
		.amdhsa_user_sgpr_dispatch_ptr 0
		.amdhsa_user_sgpr_queue_ptr 0
		.amdhsa_user_sgpr_kernarg_segment_ptr 1
		.amdhsa_user_sgpr_dispatch_id 0
		.amdhsa_user_sgpr_flat_scratch_init 0
		.amdhsa_user_sgpr_private_segment_size 0
		.amdhsa_uses_dynamic_stack 0
		.amdhsa_system_sgpr_private_segment_wavefront_offset 0
		.amdhsa_system_sgpr_workgroup_id_x 1
		.amdhsa_system_sgpr_workgroup_id_y 0
		.amdhsa_system_sgpr_workgroup_id_z 0
		.amdhsa_system_sgpr_workgroup_info 0
		.amdhsa_system_vgpr_workitem_id 0
		.amdhsa_next_free_vgpr 31
		.amdhsa_next_free_sgpr 62
		.amdhsa_reserve_vcc 1
		.amdhsa_reserve_flat_scratch 0
		.amdhsa_float_round_mode_32 0
		.amdhsa_float_round_mode_16_64 0
		.amdhsa_float_denorm_mode_32 3
		.amdhsa_float_denorm_mode_16_64 3
		.amdhsa_dx10_clamp 1
		.amdhsa_ieee_mode 1
		.amdhsa_fp16_overflow 0
		.amdhsa_exception_fp_ieee_invalid_op 0
		.amdhsa_exception_fp_denorm_src 0
		.amdhsa_exception_fp_ieee_div_zero 0
		.amdhsa_exception_fp_ieee_overflow 0
		.amdhsa_exception_fp_ieee_underflow 0
		.amdhsa_exception_fp_ieee_inexact 0
		.amdhsa_exception_int_div_zero 0
	.end_amdhsa_kernel
	.section	.text._ZN9rocsparseL12csrilu0_hashILj256ELj64ELj2E21rocsparse_complex_numIfEEEviPKiS4_PT2_S4_PiS4_S7_S7_d21rocsparse_index_base_imNS_24const_host_device_scalarIfEENS9_IdEENS9_IS5_EEb,"axG",@progbits,_ZN9rocsparseL12csrilu0_hashILj256ELj64ELj2E21rocsparse_complex_numIfEEEviPKiS4_PT2_S4_PiS4_S7_S7_d21rocsparse_index_base_imNS_24const_host_device_scalarIfEENS9_IdEENS9_IS5_EEb,comdat
.Lfunc_end34:
	.size	_ZN9rocsparseL12csrilu0_hashILj256ELj64ELj2E21rocsparse_complex_numIfEEEviPKiS4_PT2_S4_PiS4_S7_S7_d21rocsparse_index_base_imNS_24const_host_device_scalarIfEENS9_IdEENS9_IS5_EEb, .Lfunc_end34-_ZN9rocsparseL12csrilu0_hashILj256ELj64ELj2E21rocsparse_complex_numIfEEEviPKiS4_PT2_S4_PiS4_S7_S7_d21rocsparse_index_base_imNS_24const_host_device_scalarIfEENS9_IdEENS9_IS5_EEb
                                        ; -- End function
	.set _ZN9rocsparseL12csrilu0_hashILj256ELj64ELj2E21rocsparse_complex_numIfEEEviPKiS4_PT2_S4_PiS4_S7_S7_d21rocsparse_index_base_imNS_24const_host_device_scalarIfEENS9_IdEENS9_IS5_EEb.num_vgpr, 31
	.set _ZN9rocsparseL12csrilu0_hashILj256ELj64ELj2E21rocsparse_complex_numIfEEEviPKiS4_PT2_S4_PiS4_S7_S7_d21rocsparse_index_base_imNS_24const_host_device_scalarIfEENS9_IdEENS9_IS5_EEb.num_agpr, 0
	.set _ZN9rocsparseL12csrilu0_hashILj256ELj64ELj2E21rocsparse_complex_numIfEEEviPKiS4_PT2_S4_PiS4_S7_S7_d21rocsparse_index_base_imNS_24const_host_device_scalarIfEENS9_IdEENS9_IS5_EEb.numbered_sgpr, 62
	.set _ZN9rocsparseL12csrilu0_hashILj256ELj64ELj2E21rocsparse_complex_numIfEEEviPKiS4_PT2_S4_PiS4_S7_S7_d21rocsparse_index_base_imNS_24const_host_device_scalarIfEENS9_IdEENS9_IS5_EEb.num_named_barrier, 0
	.set _ZN9rocsparseL12csrilu0_hashILj256ELj64ELj2E21rocsparse_complex_numIfEEEviPKiS4_PT2_S4_PiS4_S7_S7_d21rocsparse_index_base_imNS_24const_host_device_scalarIfEENS9_IdEENS9_IS5_EEb.private_seg_size, 0
	.set _ZN9rocsparseL12csrilu0_hashILj256ELj64ELj2E21rocsparse_complex_numIfEEEviPKiS4_PT2_S4_PiS4_S7_S7_d21rocsparse_index_base_imNS_24const_host_device_scalarIfEENS9_IdEENS9_IS5_EEb.uses_vcc, 1
	.set _ZN9rocsparseL12csrilu0_hashILj256ELj64ELj2E21rocsparse_complex_numIfEEEviPKiS4_PT2_S4_PiS4_S7_S7_d21rocsparse_index_base_imNS_24const_host_device_scalarIfEENS9_IdEENS9_IS5_EEb.uses_flat_scratch, 0
	.set _ZN9rocsparseL12csrilu0_hashILj256ELj64ELj2E21rocsparse_complex_numIfEEEviPKiS4_PT2_S4_PiS4_S7_S7_d21rocsparse_index_base_imNS_24const_host_device_scalarIfEENS9_IdEENS9_IS5_EEb.has_dyn_sized_stack, 0
	.set _ZN9rocsparseL12csrilu0_hashILj256ELj64ELj2E21rocsparse_complex_numIfEEEviPKiS4_PT2_S4_PiS4_S7_S7_d21rocsparse_index_base_imNS_24const_host_device_scalarIfEENS9_IdEENS9_IS5_EEb.has_recursion, 0
	.set _ZN9rocsparseL12csrilu0_hashILj256ELj64ELj2E21rocsparse_complex_numIfEEEviPKiS4_PT2_S4_PiS4_S7_S7_d21rocsparse_index_base_imNS_24const_host_device_scalarIfEENS9_IdEENS9_IS5_EEb.has_indirect_call, 0
	.section	.AMDGPU.csdata,"",@progbits
; Kernel info:
; codeLenInByte = 3168
; TotalNumSgprs: 66
; NumVgprs: 31
; ScratchSize: 0
; MemoryBound: 0
; FloatMode: 240
; IeeeMode: 1
; LDSByteSize: 4096 bytes/workgroup (compile time only)
; SGPRBlocks: 8
; VGPRBlocks: 7
; NumSGPRsForWavesPerEU: 66
; NumVGPRsForWavesPerEU: 31
; Occupancy: 8
; WaveLimiterHint : 1
; COMPUTE_PGM_RSRC2:SCRATCH_EN: 0
; COMPUTE_PGM_RSRC2:USER_SGPR: 6
; COMPUTE_PGM_RSRC2:TRAP_HANDLER: 0
; COMPUTE_PGM_RSRC2:TGID_X_EN: 1
; COMPUTE_PGM_RSRC2:TGID_Y_EN: 0
; COMPUTE_PGM_RSRC2:TGID_Z_EN: 0
; COMPUTE_PGM_RSRC2:TIDIG_COMP_CNT: 0
	.section	.text._ZN9rocsparseL12csrilu0_hashILj256ELj64ELj4E21rocsparse_complex_numIfEEEviPKiS4_PT2_S4_PiS4_S7_S7_d21rocsparse_index_base_imNS_24const_host_device_scalarIfEENS9_IdEENS9_IS5_EEb,"axG",@progbits,_ZN9rocsparseL12csrilu0_hashILj256ELj64ELj4E21rocsparse_complex_numIfEEEviPKiS4_PT2_S4_PiS4_S7_S7_d21rocsparse_index_base_imNS_24const_host_device_scalarIfEENS9_IdEENS9_IS5_EEb,comdat
	.globl	_ZN9rocsparseL12csrilu0_hashILj256ELj64ELj4E21rocsparse_complex_numIfEEEviPKiS4_PT2_S4_PiS4_S7_S7_d21rocsparse_index_base_imNS_24const_host_device_scalarIfEENS9_IdEENS9_IS5_EEb ; -- Begin function _ZN9rocsparseL12csrilu0_hashILj256ELj64ELj4E21rocsparse_complex_numIfEEEviPKiS4_PT2_S4_PiS4_S7_S7_d21rocsparse_index_base_imNS_24const_host_device_scalarIfEENS9_IdEENS9_IS5_EEb
	.p2align	8
	.type	_ZN9rocsparseL12csrilu0_hashILj256ELj64ELj4E21rocsparse_complex_numIfEEEviPKiS4_PT2_S4_PiS4_S7_S7_d21rocsparse_index_base_imNS_24const_host_device_scalarIfEENS9_IdEENS9_IS5_EEb,@function
_ZN9rocsparseL12csrilu0_hashILj256ELj64ELj4E21rocsparse_complex_numIfEEEviPKiS4_PT2_S4_PiS4_S7_S7_d21rocsparse_index_base_imNS_24const_host_device_scalarIfEENS9_IdEENS9_IS5_EEb: ; @_ZN9rocsparseL12csrilu0_hashILj256ELj64ELj4E21rocsparse_complex_numIfEEEviPKiS4_PT2_S4_PiS4_S7_S7_d21rocsparse_index_base_imNS_24const_host_device_scalarIfEENS9_IdEENS9_IS5_EEb
; %bb.0:
	s_load_dword s0, s[4:5], 0x78
	s_load_dwordx2 s[34:35], s[4:5], 0x50
	s_load_dwordx8 s[24:31], s[4:5], 0x58
	s_waitcnt lgkmcnt(0)
	s_bitcmp1_b32 s0, 0
	s_cselect_b64 s[2:3], -1, 0
	s_cmp_eq_u32 s35, 0
	s_cselect_b64 s[12:13], -1, 0
	s_cmp_lg_u32 s35, 0
	s_cselect_b64 s[8:9], -1, 0
	s_or_b64 s[14:15], s[12:13], s[2:3]
	s_xor_b64 s[0:1], s[14:15], -1
	s_and_b64 s[10:11], s[12:13], exec
	s_cselect_b32 s11, 0, s29
	s_cselect_b32 s10, 0, s28
	s_and_b64 vcc, exec, s[14:15]
	s_cbranch_vccnz .LBB35_2
; %bb.1:
	s_load_dword s7, s[26:27], 0x0
	s_mov_b64 s[10:11], s[28:29]
	s_waitcnt lgkmcnt(0)
	v_mov_b32_e32 v18, s7
	v_mov_b32_e32 v3, s10
	s_andn2_b64 vcc, exec, s[0:1]
	v_mov_b32_e32 v4, s11
	s_cbranch_vccz .LBB35_3
	s_branch .LBB35_4
.LBB35_2:
	v_mov_b32_e32 v1, s26
	v_cndmask_b32_e64 v18, v1, 0, s[12:13]
	v_mov_b32_e32 v3, s10
	s_andn2_b64 vcc, exec, s[0:1]
	v_mov_b32_e32 v4, s11
	s_cbranch_vccnz .LBB35_4
.LBB35_3:
	v_mov_b32_e32 v1, s28
	v_mov_b32_e32 v2, s29
	flat_load_dwordx2 v[3:4], v[1:2]
.LBB35_4:
	v_cndmask_b32_e64 v1, 0, 1, s[8:9]
	s_mov_b32 s33, 0
	v_cmp_ne_u32_e64 s[0:1], 1, v1
	s_andn2_b64 vcc, exec, s[8:9]
	s_mov_b32 s35, 0
	s_cbranch_vccnz .LBB35_10
; %bb.5:
	s_xor_b64 s[8:9], s[2:3], -1
	v_cndmask_b32_e64 v1, 0, 1, s[8:9]
	v_cmp_ne_u32_e64 s[2:3], 1, v1
	s_andn2_b64 vcc, exec, s[8:9]
	s_mov_b32 s33, s30
	s_cbranch_vccnz .LBB35_7
; %bb.6:
	s_load_dword s33, s[30:31], 0x0
.LBB35_7:
	s_and_b64 vcc, exec, s[2:3]
	s_cbranch_vccnz .LBB35_9
; %bb.8:
	s_load_dword s31, s[30:31], 0x4
.LBB35_9:
	s_waitcnt lgkmcnt(0)
	s_mov_b32 s35, s31
.LBB35_10:
	v_and_b32_e32 v17, 63, v0
	v_lshrrev_b32_e32 v1, 6, v0
	v_lshlrev_b32_e32 v5, 10, v1
	v_lshlrev_b32_e32 v6, 2, v17
	s_movk_i32 s2, 0x1000
	v_or_b32_e32 v2, 0xffffffc0, v17
	v_or3_b32 v5, v5, v6, s2
	s_mov_b64 s[2:3], 0
	v_mov_b32_e32 v6, -1
	s_movk_i32 s7, 0xbf
.LBB35_11:                              ; =>This Inner Loop Header: Depth=1
	v_add_u32_e32 v2, 64, v2
	v_cmp_lt_u32_e32 vcc, s7, v2
	ds_write_b32 v5, v6
	s_or_b64 s[2:3], vcc, s[2:3]
	v_add_u32_e32 v5, 0x100, v5
	s_andn2_b64 exec, exec, s[2:3]
	s_cbranch_execnz .LBB35_11
; %bb.12:
	s_or_b64 exec, exec, s[2:3]
	s_load_dword s2, s[4:5], 0x0
	s_lshl_b32 s3, s6, 2
	s_and_b32 s3, s3, 0x3fffffc
	v_or_b32_e32 v1, s3, v1
	s_waitcnt lgkmcnt(0)
	v_cmp_gt_i32_e32 vcc, s2, v1
	s_and_saveexec_b64 s[2:3], vcc
	s_cbranch_execz .LBB35_90
; %bb.13:
	s_load_dwordx16 s[8:23], s[4:5], 0x8
	v_lshlrev_b32_e32 v1, 2, v1
	v_lshlrev_b32_e32 v0, 4, v0
	v_and_b32_e32 v0, 0xc00, v0
	v_or_b32_e32 v19, 0x1000, v0
	s_waitcnt lgkmcnt(0)
	global_load_dword v5, v1, s[18:19]
	v_mov_b32_e32 v7, s9
	v_mov_b32_e32 v10, s15
	s_waitcnt vmcnt(0)
	v_ashrrev_i32_e32 v6, 31, v5
	v_lshlrev_b64 v[1:2], 2, v[5:6]
	v_add_co_u32_e32 v6, vcc, s8, v1
	v_addc_co_u32_e32 v7, vcc, v7, v2, vcc
	global_load_dwordx2 v[7:8], v[6:7], off
	v_add_co_u32_e32 v9, vcc, s14, v1
	v_addc_co_u32_e32 v10, vcc, v10, v2, vcc
	global_load_dword v6, v[9:10], off
	s_waitcnt vmcnt(1)
	v_subrev_u32_e32 v7, s34, v7
	v_subrev_u32_e32 v10, s34, v8
	v_add_u32_e32 v8, v7, v17
	v_cmp_lt_i32_e32 vcc, v8, v10
	s_and_saveexec_b64 s[2:3], vcc
	s_cbranch_execz .LBB35_36
; %bb.14:
	s_mov_b64 s[6:7], 0
	v_mov_b32_e32 v11, s11
	s_movk_i32 s56, 0x67
	v_mov_b32_e32 v12, -1
	s_branch .LBB35_16
.LBB35_15:                              ;   in Loop: Header=BB35_16 Depth=1
	s_or_b64 exec, exec, s[18:19]
	v_add_u32_e32 v8, 64, v8
	v_cmp_ge_i32_e32 vcc, v8, v10
	s_or_b64 s[6:7], vcc, s[6:7]
	s_andn2_b64 exec, exec, s[6:7]
	s_cbranch_execz .LBB35_36
.LBB35_16:                              ; =>This Loop Header: Depth=1
                                        ;     Child Loop BB35_25 Depth 2
	v_ashrrev_i32_e32 v9, 31, v8
	v_lshlrev_b64 v[13:14], 2, v[8:9]
	s_mov_b64 s[26:27], 0
	v_add_co_u32_e32 v13, vcc, s10, v13
	v_addc_co_u32_e32 v14, vcc, v11, v14, vcc
	global_load_dword v9, v[13:14], off
	v_mov_b32_e32 v13, 0x100
                                        ; implicit-def: $sgpr18_sgpr19
                                        ; implicit-def: $sgpr28_sgpr29
                                        ; implicit-def: $sgpr30_sgpr31
	s_waitcnt vmcnt(0)
	v_mul_lo_u32 v15, v9, s56
	s_branch .LBB35_25
.LBB35_17:                              ;   in Loop: Header=BB35_25 Depth=2
	s_or_b64 exec, exec, s[54:55]
	s_orn2_b64 s[50:51], s[50:51], exec
	s_orn2_b64 s[52:53], s[52:53], exec
.LBB35_18:                              ;   in Loop: Header=BB35_25 Depth=2
	s_or_b64 exec, exec, s[48:49]
	s_and_b64 s[50:51], s[50:51], exec
	s_orn2_b64 s[48:49], s[52:53], exec
.LBB35_19:                              ;   in Loop: Header=BB35_25 Depth=2
	s_or_b64 exec, exec, s[46:47]
	s_orn2_b64 s[50:51], s[50:51], exec
	s_orn2_b64 s[46:47], s[48:49], exec
.LBB35_20:                              ;   in Loop: Header=BB35_25 Depth=2
	s_or_b64 exec, exec, s[44:45]
	s_and_b64 s[48:49], s[50:51], exec
	s_orn2_b64 s[44:45], s[46:47], exec
.LBB35_21:                              ;   in Loop: Header=BB35_25 Depth=2
	s_or_b64 exec, exec, s[42:43]
	s_orn2_b64 s[42:43], s[48:49], exec
	s_orn2_b64 s[44:45], s[44:45], exec
.LBB35_22:                              ;   in Loop: Header=BB35_25 Depth=2
	s_or_b64 exec, exec, s[40:41]
	s_and_b64 s[42:43], s[42:43], exec
	s_orn2_b64 s[40:41], s[44:45], exec
.LBB35_23:                              ;   in Loop: Header=BB35_25 Depth=2
	s_or_b64 exec, exec, s[38:39]
	s_andn2_b64 s[30:31], s[30:31], exec
	s_and_b64 s[38:39], s[42:43], exec
	s_or_b64 s[30:31], s[30:31], s[38:39]
	s_andn2_b64 s[28:29], s[28:29], exec
	s_and_b64 s[38:39], s[40:41], exec
	s_or_b64 s[28:29], s[28:29], s[38:39]
.LBB35_24:                              ;   in Loop: Header=BB35_25 Depth=2
	s_or_b64 exec, exec, s[36:37]
	s_and_b64 s[36:37], exec, s[28:29]
	s_or_b64 s[26:27], s[36:37], s[26:27]
	s_andn2_b64 s[18:19], s[18:19], exec
	s_and_b64 s[36:37], s[30:31], exec
	s_or_b64 s[18:19], s[18:19], s[36:37]
	s_andn2_b64 exec, exec, s[26:27]
	s_cbranch_execz .LBB35_34
.LBB35_25:                              ;   Parent Loop BB35_16 Depth=1
                                        ; =>  This Inner Loop Header: Depth=2
	v_and_b32_e32 v14, 0xff, v15
	v_lshl_add_u32 v16, v14, 2, v19
	ds_read_b32 v20, v16
	s_or_b64 s[30:31], s[30:31], exec
	s_or_b64 s[28:29], s[28:29], exec
	s_waitcnt lgkmcnt(0)
	v_cmp_ne_u32_e32 vcc, v20, v9
	s_and_saveexec_b64 s[36:37], vcc
	s_cbranch_execz .LBB35_24
; %bb.26:                               ;   in Loop: Header=BB35_25 Depth=2
	ds_cmpst_rtn_b32 v16, v16, v12, v9
	s_mov_b64 s[40:41], -1
	s_mov_b64 s[42:43], 0
	s_waitcnt lgkmcnt(0)
	v_cmp_ne_u32_e32 vcc, -1, v16
	s_and_saveexec_b64 s[38:39], vcc
	s_cbranch_execz .LBB35_23
; %bb.27:                               ;   in Loop: Header=BB35_25 Depth=2
	v_add_u32_e32 v14, 1, v15
	v_and_b32_e32 v14, 0xff, v14
	v_lshl_add_u32 v16, v14, 2, v19
	ds_read_b32 v20, v16
	s_mov_b64 s[44:45], -1
	s_mov_b64 s[42:43], -1
	s_waitcnt lgkmcnt(0)
	v_cmp_ne_u32_e32 vcc, v20, v9
	s_and_saveexec_b64 s[40:41], vcc
	s_cbranch_execz .LBB35_22
; %bb.28:                               ;   in Loop: Header=BB35_25 Depth=2
	ds_cmpst_rtn_b32 v16, v16, v12, v9
	s_mov_b64 s[48:49], 0
	s_waitcnt lgkmcnt(0)
	v_cmp_ne_u32_e32 vcc, -1, v16
	s_and_saveexec_b64 s[42:43], vcc
	s_cbranch_execz .LBB35_21
; %bb.29:                               ;   in Loop: Header=BB35_25 Depth=2
	v_add_u32_e32 v14, 2, v15
	v_and_b32_e32 v14, 0xff, v14
	v_lshl_add_u32 v16, v14, 2, v19
	ds_read_b32 v20, v16
	s_mov_b64 s[46:47], -1
	s_mov_b64 s[50:51], -1
	s_waitcnt lgkmcnt(0)
	v_cmp_ne_u32_e32 vcc, v20, v9
	s_and_saveexec_b64 s[44:45], vcc
	s_cbranch_execz .LBB35_20
; %bb.30:                               ;   in Loop: Header=BB35_25 Depth=2
	ds_cmpst_rtn_b32 v16, v16, v12, v9
	s_mov_b64 s[48:49], -1
	s_mov_b64 s[50:51], 0
	s_waitcnt lgkmcnt(0)
	v_cmp_ne_u32_e32 vcc, -1, v16
	s_and_saveexec_b64 s[46:47], vcc
	s_cbranch_execz .LBB35_19
; %bb.31:                               ;   in Loop: Header=BB35_25 Depth=2
	v_add_u32_e32 v14, 3, v15
	v_and_b32_e32 v14, 0xff, v14
	v_lshl_add_u32 v16, v14, 2, v19
	ds_read_b32 v15, v16
	s_mov_b64 s[52:53], -1
	s_mov_b64 s[50:51], -1
	s_waitcnt lgkmcnt(0)
	v_cmp_ne_u32_e32 vcc, v15, v9
                                        ; implicit-def: $vgpr15
	s_and_saveexec_b64 s[48:49], vcc
	s_cbranch_execz .LBB35_18
; %bb.32:                               ;   in Loop: Header=BB35_25 Depth=2
	ds_cmpst_rtn_b32 v15, v16, v12, v9
	s_mov_b64 s[50:51], 0
	s_waitcnt lgkmcnt(0)
	v_cmp_ne_u32_e32 vcc, -1, v15
                                        ; implicit-def: $vgpr15
	s_and_saveexec_b64 s[54:55], vcc
	s_cbranch_execz .LBB35_17
; %bb.33:                               ;   in Loop: Header=BB35_25 Depth=2
	v_add_u32_e32 v13, -4, v13
	v_cmp_eq_u32_e32 vcc, 0, v13
	s_mov_b64 s[50:51], exec
	v_add_u32_e32 v15, 1, v14
	s_orn2_b64 s[52:53], vcc, exec
	s_branch .LBB35_17
.LBB35_34:                              ;   in Loop: Header=BB35_16 Depth=1
	s_or_b64 exec, exec, s[26:27]
	s_xor_b64 s[18:19], s[18:19], -1
	s_and_saveexec_b64 s[26:27], s[18:19]
	s_xor_b64 s[18:19], exec, s[26:27]
	s_cbranch_execz .LBB35_15
; %bb.35:                               ;   in Loop: Header=BB35_16 Depth=1
	v_lshl_add_u32 v9, v14, 2, v0
	ds_write_b32 v9, v8
	s_branch .LBB35_15
.LBB35_36:
	s_or_b64 exec, exec, s[2:3]
	s_waitcnt vmcnt(0)
	v_cmp_lt_i32_e32 vcc, v7, v6
	s_waitcnt lgkmcnt(0)
	s_and_saveexec_b64 s[6:7], vcc
	s_cbranch_execz .LBB35_66
; %bb.37:
	v_add_u32_e32 v20, 1, v17
	s_mov_b64 s[18:19], 0
	v_mov_b32_e32 v21, s11
	v_mov_b32_e32 v22, s13
	;; [unrolled: 1-line block ×5, first 2 shown]
	s_movk_i32 s9, 0x67
	s_branch .LBB35_40
.LBB35_38:                              ;   in Loop: Header=BB35_40 Depth=1
	s_or_b64 exec, exec, s[26:27]
	v_add_u32_e32 v7, 1, v7
	v_cmp_ge_i32_e32 vcc, v7, v6
	s_orn2_b64 s[26:27], vcc, exec
.LBB35_39:                              ;   in Loop: Header=BB35_40 Depth=1
	s_or_b64 exec, exec, s[2:3]
	s_and_b64 s[2:3], exec, s[26:27]
	s_or_b64 s[18:19], s[2:3], s[18:19]
	s_andn2_b64 exec, exec, s[18:19]
	s_cbranch_execz .LBB35_66
.LBB35_40:                              ; =>This Loop Header: Depth=1
                                        ;     Child Loop BB35_41 Depth 2
                                        ;     Child Loop BB35_46 Depth 2
                                        ;       Child Loop BB35_55 Depth 3
	v_ashrrev_i32_e32 v8, 31, v7
	v_lshlrev_b64 v[9:10], 2, v[7:8]
	s_mov_b64 s[2:3], 0
	v_add_co_u32_e32 v9, vcc, s10, v9
	v_addc_co_u32_e32 v10, vcc, v21, v10, vcc
	global_load_dword v11, v[9:10], off
	v_lshlrev_b64 v[8:9], 3, v[7:8]
	v_add_co_u32_e32 v12, vcc, s12, v8
	v_addc_co_u32_e32 v13, vcc, v22, v9, vcc
	global_load_dwordx2 v[9:10], v[12:13], off
	s_waitcnt vmcnt(1)
	v_subrev_u32_e32 v14, s34, v11
	v_ashrrev_i32_e32 v15, 31, v14
	v_lshlrev_b64 v[14:15], 2, v[14:15]
	v_add_co_u32_e32 v26, vcc, s8, v14
	v_addc_co_u32_e32 v27, vcc, v23, v15, vcc
	v_add_co_u32_e32 v28, vcc, s14, v14
	v_addc_co_u32_e32 v29, vcc, v24, v15, vcc
	global_load_dword v8, v[26:27], off offset:4
	global_load_dword v11, v[28:29], off
	v_add_co_u32_e32 v14, vcc, s16, v14
	v_addc_co_u32_e32 v15, vcc, v25, v15, vcc
.LBB35_41:                              ;   Parent Loop BB35_40 Depth=1
                                        ; =>  This Inner Loop Header: Depth=2
	global_load_dword v16, v[14:15], off glc
	s_waitcnt vmcnt(0)
	v_cmp_ne_u32_e32 vcc, 0, v16
	s_or_b64 s[2:3], vcc, s[2:3]
	s_andn2_b64 exec, exec, s[2:3]
	s_cbranch_execnz .LBB35_41
; %bb.42:                               ;   in Loop: Header=BB35_40 Depth=1
	s_or_b64 exec, exec, s[2:3]
	v_subrev_u32_e32 v26, s34, v8
	v_add_u32_e32 v8, -1, v26
	v_cmp_eq_u32_e32 vcc, -1, v11
	v_cndmask_b32_e32 v14, v11, v8, vcc
	v_ashrrev_i32_e32 v15, 31, v14
	v_lshlrev_b64 v[15:16], 3, v[14:15]
	buffer_wbinvl1_vol
	v_add_co_u32_e32 v15, vcc, s12, v15
	v_addc_co_u32_e32 v16, vcc, v22, v16, vcc
	global_load_dwordx2 v[15:16], v[15:16], off
	s_mov_b64 s[26:27], -1
	s_waitcnt vmcnt(0)
	v_cmp_neq_f32_e32 vcc, 0, v15
	v_cmp_neq_f32_e64 s[2:3], 0, v16
	s_or_b64 s[28:29], vcc, s[2:3]
	s_and_saveexec_b64 s[2:3], s[28:29]
	s_cbranch_execz .LBB35_39
; %bb.43:                               ;   in Loop: Header=BB35_40 Depth=1
	v_mul_f32_e32 v11, v16, v16
	v_fmac_f32_e32 v11, v15, v15
	v_div_scale_f32 v8, s[26:27], v11, v11, 1.0
	v_div_scale_f32 v27, vcc, 1.0, v11, 1.0
	v_rcp_f32_e32 v28, v8
	v_fma_f32 v29, -v8, v28, 1.0
	v_fmac_f32_e32 v28, v29, v28
	v_mul_f32_e32 v29, v27, v28
	v_fma_f32 v30, -v8, v29, v27
	v_fmac_f32_e32 v29, v30, v28
	v_fma_f32 v8, -v8, v29, v27
	v_div_fmas_f32 v27, v8, v28, v29
	v_mul_f32_e32 v28, v10, v16
	v_mul_f32_e64 v16, v16, -v9
	v_add_u32_e32 v8, v20, v14
	v_fmac_f32_e32 v28, v9, v15
	v_fmac_f32_e32 v16, v10, v15
	v_cmp_lt_i32_e32 vcc, v8, v26
	v_div_fixup_f32 v9, v27, v11, 1.0
	v_mul_f32_e32 v10, v28, v9
	v_mul_f32_e32 v11, v16, v9
	global_store_dwordx2 v[12:13], v[10:11], off
	s_and_saveexec_b64 s[26:27], vcc
	s_cbranch_execz .LBB35_38
; %bb.44:                               ;   in Loop: Header=BB35_40 Depth=1
	s_mov_b64 s[28:29], 0
	s_branch .LBB35_46
.LBB35_45:                              ;   in Loop: Header=BB35_46 Depth=2
	s_or_b64 exec, exec, s[30:31]
	v_add_u32_e32 v8, 64, v8
	v_cmp_ge_i32_e32 vcc, v8, v26
	s_or_b64 s[28:29], vcc, s[28:29]
	s_andn2_b64 exec, exec, s[28:29]
	s_cbranch_execz .LBB35_38
.LBB35_46:                              ;   Parent Loop BB35_40 Depth=1
                                        ; =>  This Loop Header: Depth=2
                                        ;       Child Loop BB35_55 Depth 3
	v_ashrrev_i32_e32 v9, 31, v8
	v_lshlrev_b64 v[12:13], 2, v[8:9]
	s_mov_b64 s[36:37], 0
	v_add_co_u32_e32 v12, vcc, s10, v12
	v_addc_co_u32_e32 v13, vcc, v21, v13, vcc
	global_load_dword v12, v[12:13], off
	v_mov_b32_e32 v13, 0x100
                                        ; implicit-def: $sgpr30_sgpr31
                                        ; implicit-def: $sgpr38_sgpr39
                                        ; implicit-def: $sgpr40_sgpr41
	s_waitcnt vmcnt(0)
	v_mul_lo_u32 v15, v12, s9
	s_branch .LBB35_55
.LBB35_47:                              ;   in Loop: Header=BB35_55 Depth=3
	s_or_b64 exec, exec, s[60:61]
	s_orn2_b64 s[56:57], s[56:57], exec
	s_orn2_b64 s[58:59], s[58:59], exec
.LBB35_48:                              ;   in Loop: Header=BB35_55 Depth=3
	s_or_b64 exec, exec, s[54:55]
	s_and_b64 s[56:57], s[56:57], exec
	s_orn2_b64 s[54:55], s[58:59], exec
.LBB35_49:                              ;   in Loop: Header=BB35_55 Depth=3
	s_or_b64 exec, exec, s[52:53]
	s_orn2_b64 s[56:57], s[56:57], exec
	s_orn2_b64 s[52:53], s[54:55], exec
.LBB35_50:                              ;   in Loop: Header=BB35_55 Depth=3
	s_or_b64 exec, exec, s[50:51]
	s_and_b64 s[54:55], s[56:57], exec
	s_orn2_b64 s[50:51], s[52:53], exec
.LBB35_51:                              ;   in Loop: Header=BB35_55 Depth=3
	s_or_b64 exec, exec, s[48:49]
	s_orn2_b64 s[48:49], s[54:55], exec
	s_orn2_b64 s[50:51], s[50:51], exec
.LBB35_52:                              ;   in Loop: Header=BB35_55 Depth=3
	s_or_b64 exec, exec, s[46:47]
	s_and_b64 s[48:49], s[48:49], exec
	s_orn2_b64 s[46:47], s[50:51], exec
.LBB35_53:                              ;   in Loop: Header=BB35_55 Depth=3
	s_or_b64 exec, exec, s[44:45]
	s_andn2_b64 s[40:41], s[40:41], exec
	s_and_b64 s[44:45], s[48:49], exec
	s_or_b64 s[40:41], s[40:41], s[44:45]
	s_andn2_b64 s[38:39], s[38:39], exec
	s_and_b64 s[44:45], s[46:47], exec
	s_or_b64 s[38:39], s[38:39], s[44:45]
.LBB35_54:                              ;   in Loop: Header=BB35_55 Depth=3
	s_or_b64 exec, exec, s[42:43]
	s_and_b64 s[42:43], exec, s[38:39]
	s_or_b64 s[36:37], s[42:43], s[36:37]
	s_andn2_b64 s[30:31], s[30:31], exec
	s_and_b64 s[42:43], s[40:41], exec
	s_or_b64 s[30:31], s[30:31], s[42:43]
	s_andn2_b64 exec, exec, s[36:37]
	s_cbranch_execz .LBB35_64
.LBB35_55:                              ;   Parent Loop BB35_40 Depth=1
                                        ;     Parent Loop BB35_46 Depth=2
                                        ; =>    This Inner Loop Header: Depth=3
	v_and_b32_e32 v14, 0xff, v15
	v_lshl_add_u32 v16, v14, 2, v19
	ds_read_b32 v16, v16
	s_or_b64 s[40:41], s[40:41], exec
	s_or_b64 s[38:39], s[38:39], exec
	s_waitcnt lgkmcnt(0)
	v_cmp_ne_u32_e32 vcc, -1, v16
	s_and_saveexec_b64 s[42:43], vcc
	s_cbranch_execz .LBB35_54
; %bb.56:                               ;   in Loop: Header=BB35_55 Depth=3
	v_cmp_ne_u32_e32 vcc, v16, v12
	s_mov_b64 s[46:47], -1
	s_mov_b64 s[48:49], 0
	s_and_saveexec_b64 s[44:45], vcc
	s_cbranch_execz .LBB35_53
; %bb.57:                               ;   in Loop: Header=BB35_55 Depth=3
	v_add_u32_e32 v14, 1, v15
	v_and_b32_e32 v14, 0xff, v14
	v_lshl_add_u32 v16, v14, 2, v19
	ds_read_b32 v16, v16
	s_mov_b64 s[50:51], -1
	s_mov_b64 s[48:49], -1
	s_waitcnt lgkmcnt(0)
	v_cmp_ne_u32_e32 vcc, -1, v16
	s_and_saveexec_b64 s[46:47], vcc
	s_cbranch_execz .LBB35_52
; %bb.58:                               ;   in Loop: Header=BB35_55 Depth=3
	v_cmp_ne_u32_e32 vcc, v16, v12
	s_mov_b64 s[54:55], 0
	s_and_saveexec_b64 s[48:49], vcc
	s_cbranch_execz .LBB35_51
; %bb.59:                               ;   in Loop: Header=BB35_55 Depth=3
	v_add_u32_e32 v14, 2, v15
	v_and_b32_e32 v14, 0xff, v14
	v_lshl_add_u32 v16, v14, 2, v19
	ds_read_b32 v16, v16
	s_mov_b64 s[52:53], -1
	s_mov_b64 s[56:57], -1
	s_waitcnt lgkmcnt(0)
	v_cmp_ne_u32_e32 vcc, -1, v16
	s_and_saveexec_b64 s[50:51], vcc
	s_cbranch_execz .LBB35_50
; %bb.60:                               ;   in Loop: Header=BB35_55 Depth=3
	v_cmp_ne_u32_e32 vcc, v16, v12
	s_mov_b64 s[54:55], -1
	s_mov_b64 s[56:57], 0
	s_and_saveexec_b64 s[52:53], vcc
	s_cbranch_execz .LBB35_49
; %bb.61:                               ;   in Loop: Header=BB35_55 Depth=3
	v_add_u32_e32 v14, 3, v15
	v_and_b32_e32 v14, 0xff, v14
	v_lshl_add_u32 v15, v14, 2, v19
	ds_read_b32 v16, v15
	s_mov_b64 s[58:59], -1
	s_mov_b64 s[56:57], -1
                                        ; implicit-def: $vgpr15
	s_waitcnt lgkmcnt(0)
	v_cmp_ne_u32_e32 vcc, -1, v16
	s_and_saveexec_b64 s[54:55], vcc
	s_cbranch_execz .LBB35_48
; %bb.62:                               ;   in Loop: Header=BB35_55 Depth=3
	v_cmp_ne_u32_e32 vcc, v16, v12
	s_mov_b64 s[56:57], 0
                                        ; implicit-def: $vgpr15
	s_and_saveexec_b64 s[60:61], vcc
	s_cbranch_execz .LBB35_47
; %bb.63:                               ;   in Loop: Header=BB35_55 Depth=3
	v_add_u32_e32 v13, -4, v13
	v_cmp_eq_u32_e32 vcc, 0, v13
	s_mov_b64 s[56:57], exec
	v_add_u32_e32 v15, 1, v14
	s_orn2_b64 s[58:59], vcc, exec
	s_branch .LBB35_47
.LBB35_64:                              ;   in Loop: Header=BB35_46 Depth=2
	s_or_b64 exec, exec, s[36:37]
	s_xor_b64 s[30:31], s[30:31], -1
	s_and_saveexec_b64 s[36:37], s[30:31]
	s_xor_b64 s[30:31], exec, s[36:37]
	s_cbranch_execz .LBB35_45
; %bb.65:                               ;   in Loop: Header=BB35_46 Depth=2
	v_lshl_add_u32 v12, v14, 2, v0
	ds_read_b32 v12, v12
	v_lshlrev_b64 v[14:15], 3, v[8:9]
	v_add_co_u32_e32 v14, vcc, s12, v14
	s_waitcnt lgkmcnt(0)
	v_ashrrev_i32_e32 v13, 31, v12
	v_lshlrev_b64 v[12:13], 3, v[12:13]
	v_addc_co_u32_e32 v15, vcc, v22, v15, vcc
	v_add_co_u32_e32 v12, vcc, s12, v12
	v_addc_co_u32_e32 v13, vcc, v22, v13, vcc
	global_load_dwordx2 v[27:28], v[14:15], off
	global_load_dwordx2 v[29:30], v[12:13], off
	s_waitcnt vmcnt(0)
	v_fma_f32 v14, -v10, v27, v29
	v_fma_f32 v9, -v11, v27, v30
	v_fmac_f32_e32 v14, v11, v28
	v_fma_f32 v15, -v10, v28, v9
	global_store_dwordx2 v[12:13], v[14:15], off
	s_branch .LBB35_45
.LBB35_66:
	s_or_b64 exec, exec, s[6:7]
	v_cmp_lt_i32_e32 vcc, -1, v6
	s_and_saveexec_b64 s[6:7], vcc
	s_cbranch_execz .LBB35_88
; %bb.67:
	v_mov_b32_e32 v7, 0
	v_lshlrev_b64 v[8:9], 3, v[6:7]
	v_mov_b32_e32 v0, s13
	v_add_co_u32_e32 v10, vcc, s12, v8
	v_addc_co_u32_e32 v11, vcc, v0, v9, vcc
	global_load_dwordx2 v[8:9], v[10:11], off
	s_waitcnt vmcnt(0)
	v_cmp_gt_f32_e32 vcc, 0, v8
	v_cndmask_b32_e64 v0, v8, -v8, vcc
	v_cmp_gt_f32_e32 vcc, 0, v9
	v_cndmask_b32_e64 v6, v9, -v9, vcc
	v_cmp_ngt_f32_e32 vcc, v0, v6
	s_and_saveexec_b64 s[2:3], vcc
	s_xor_b64 s[8:9], exec, s[2:3]
	s_cbranch_execz .LBB35_71
; %bb.68:
	v_cmp_neq_f32_e32 vcc, 0, v9
	s_and_saveexec_b64 s[10:11], vcc
	s_cbranch_execz .LBB35_70
; %bb.69:
	v_div_scale_f32 v7, s[2:3], v6, v6, v0
	v_div_scale_f32 v12, vcc, v0, v6, v0
	s_mov_b32 s2, 0xf800000
	v_rcp_f32_e32 v13, v7
	v_fma_f32 v14, -v7, v13, 1.0
	v_fmac_f32_e32 v13, v14, v13
	v_mul_f32_e32 v14, v12, v13
	v_fma_f32 v15, -v7, v14, v12
	v_fmac_f32_e32 v14, v15, v13
	v_fma_f32 v7, -v7, v14, v12
	v_div_fmas_f32 v7, v7, v13, v14
	v_mov_b32_e32 v12, 0x260
	v_div_fixup_f32 v0, v7, v6, v0
	v_fma_f32 v0, v0, v0, 1.0
	v_mul_f32_e32 v7, 0x4f800000, v0
	v_cmp_gt_f32_e32 vcc, s2, v0
	v_cndmask_b32_e32 v0, v0, v7, vcc
	v_sqrt_f32_e32 v7, v0
	v_add_u32_e32 v13, -1, v7
	v_add_u32_e32 v14, 1, v7
	v_fma_f32 v15, -v13, v7, v0
	v_fma_f32 v16, -v14, v7, v0
	v_cmp_ge_f32_e64 s[2:3], 0, v15
	v_cndmask_b32_e64 v7, v7, v13, s[2:3]
	v_cmp_lt_f32_e64 s[2:3], 0, v16
	v_cndmask_b32_e64 v7, v7, v14, s[2:3]
	v_mul_f32_e32 v13, 0x37800000, v7
	v_cndmask_b32_e32 v7, v7, v13, vcc
	v_cmp_class_f32_e32 vcc, v0, v12
	v_cndmask_b32_e32 v0, v7, v0, vcc
	v_mul_f32_e32 v7, v6, v0
.LBB35_70:
	s_or_b64 exec, exec, s[10:11]
                                        ; implicit-def: $vgpr0
                                        ; implicit-def: $vgpr6
.LBB35_71:
	s_andn2_saveexec_b64 s[8:9], s[8:9]
	s_cbranch_execz .LBB35_73
; %bb.72:
	v_div_scale_f32 v7, s[2:3], v0, v0, v6
	v_div_scale_f32 v12, vcc, v6, v0, v6
	s_mov_b32 s2, 0xf800000
	v_rcp_f32_e32 v13, v7
	v_fma_f32 v14, -v7, v13, 1.0
	v_fmac_f32_e32 v13, v14, v13
	v_mul_f32_e32 v14, v12, v13
	v_fma_f32 v15, -v7, v14, v12
	v_fmac_f32_e32 v14, v15, v13
	v_fma_f32 v7, -v7, v14, v12
	v_div_fmas_f32 v7, v7, v13, v14
	v_mov_b32_e32 v12, 0x260
	v_div_fixup_f32 v6, v7, v0, v6
	v_fma_f32 v6, v6, v6, 1.0
	v_mul_f32_e32 v7, 0x4f800000, v6
	v_cmp_gt_f32_e32 vcc, s2, v6
	v_cndmask_b32_e32 v6, v6, v7, vcc
	v_sqrt_f32_e32 v7, v6
	v_add_u32_e32 v13, -1, v7
	v_add_u32_e32 v14, 1, v7
	v_fma_f32 v15, -v13, v7, v6
	v_fma_f32 v16, -v14, v7, v6
	v_cmp_ge_f32_e64 s[2:3], 0, v15
	v_cndmask_b32_e64 v7, v7, v13, s[2:3]
	v_cmp_lt_f32_e64 s[2:3], 0, v16
	v_cndmask_b32_e64 v7, v7, v14, s[2:3]
	v_mul_f32_e32 v13, 0x37800000, v7
	v_cndmask_b32_e32 v7, v7, v13, vcc
	v_cmp_class_f32_e32 vcc, v6, v12
	v_cndmask_b32_e32 v6, v7, v6, vcc
	v_mul_f32_e32 v7, v0, v6
.LBB35_73:
	s_or_b64 exec, exec, s[8:9]
	v_cvt_f64_f32_e32 v[6:7], v7
	v_cmp_eq_u32_e64 s[2:3], 0, v17
	s_and_b64 vcc, exec, s[0:1]
	s_mov_b64 s[0:1], -1
	s_cbranch_vccnz .LBB35_77
; %bb.74:
	v_cvt_f64_f32_e32 v[12:13], v18
	s_cmp_eq_u64 s[24:25], 8
	s_cselect_b64 vcc, -1, 0
	v_cndmask_b32_e32 v4, v13, v4, vcc
	v_cndmask_b32_e32 v3, v12, v3, vcc
	v_cmp_ge_f64_e32 vcc, v[3:4], v[6:7]
	s_and_b64 s[8:9], s[2:3], vcc
	s_and_saveexec_b64 s[0:1], s[8:9]
	s_cbranch_execz .LBB35_76
; %bb.75:
	v_mov_b32_e32 v3, s33
	v_mov_b32_e32 v4, s35
	global_store_dwordx2 v[10:11], v[3:4], off
	s_waitcnt vmcnt(0)
	buffer_wbinvl1_vol
.LBB35_76:
	s_or_b64 exec, exec, s[0:1]
	s_mov_b64 s[0:1], 0
.LBB35_77:
	s_andn2_b64 vcc, exec, s[0:1]
	s_cbranch_vccnz .LBB35_88
; %bb.78:
	s_load_dwordx2 s[0:1], s[4:5], 0x48
	v_add_u32_e32 v0, s34, v5
	s_waitcnt lgkmcnt(0)
	v_cmp_ge_f64_e32 vcc, s[0:1], v[6:7]
	s_and_b64 s[4:5], s[2:3], vcc
	s_and_saveexec_b64 s[0:1], s[4:5]
	s_cbranch_execz .LBB35_83
; %bb.79:
	s_mov_b64 s[4:5], exec
	s_brev_b32 s8, -2
.LBB35_80:                              ; =>This Inner Loop Header: Depth=1
	s_ff1_i32_b64 s9, s[4:5]
	v_readlane_b32 s12, v0, s9
	s_lshl_b64 s[10:11], 1, s9
	s_min_i32 s8, s8, s12
	s_andn2_b64 s[4:5], s[4:5], s[10:11]
	s_cmp_lg_u64 s[4:5], 0
	s_cbranch_scc1 .LBB35_80
; %bb.81:
	v_mbcnt_lo_u32_b32 v3, exec_lo, 0
	v_mbcnt_hi_u32_b32 v3, exec_hi, v3
	v_cmp_eq_u32_e32 vcc, 0, v3
	s_and_saveexec_b64 s[4:5], vcc
	s_xor_b64 s[4:5], exec, s[4:5]
	s_cbranch_execz .LBB35_83
; %bb.82:
	v_mov_b32_e32 v3, 0
	v_mov_b32_e32 v4, s8
	global_atomic_smin v3, v4, s[22:23]
.LBB35_83:
	s_or_b64 exec, exec, s[0:1]
	v_cmp_eq_f32_e32 vcc, 0, v8
	v_cmp_eq_f32_e64 s[0:1], 0, v9
	s_and_b64 s[0:1], vcc, s[0:1]
	s_and_b64 s[0:1], s[2:3], s[0:1]
	s_and_b64 exec, exec, s[0:1]
	s_cbranch_execz .LBB35_88
; %bb.84:
	s_mov_b64 s[0:1], exec
	s_brev_b32 s2, -2
.LBB35_85:                              ; =>This Inner Loop Header: Depth=1
	s_ff1_i32_b64 s3, s[0:1]
	v_readlane_b32 s8, v0, s3
	s_lshl_b64 s[4:5], 1, s3
	s_min_i32 s2, s2, s8
	s_andn2_b64 s[0:1], s[0:1], s[4:5]
	s_cmp_lg_u64 s[0:1], 0
	s_cbranch_scc1 .LBB35_85
; %bb.86:
	v_mbcnt_lo_u32_b32 v0, exec_lo, 0
	v_mbcnt_hi_u32_b32 v0, exec_hi, v0
	v_cmp_eq_u32_e32 vcc, 0, v0
	s_and_saveexec_b64 s[0:1], vcc
	s_xor_b64 s[0:1], exec, s[0:1]
	s_cbranch_execz .LBB35_88
; %bb.87:
	v_mov_b32_e32 v0, 0
	v_mov_b32_e32 v3, s2
	global_atomic_smin v0, v3, s[20:21]
.LBB35_88:
	s_or_b64 exec, exec, s[6:7]
	v_cmp_eq_u32_e32 vcc, 0, v17
	s_waitcnt vmcnt(0)
	buffer_wbinvl1_vol
	s_and_b64 exec, exec, vcc
	s_cbranch_execz .LBB35_90
; %bb.89:
	v_mov_b32_e32 v3, s17
	v_add_co_u32_e32 v0, vcc, s16, v1
	v_addc_co_u32_e32 v1, vcc, v3, v2, vcc
	v_mov_b32_e32 v2, 1
	global_store_dword v[0:1], v2, off
.LBB35_90:
	s_endpgm
	.section	.rodata,"a",@progbits
	.p2align	6, 0x0
	.amdhsa_kernel _ZN9rocsparseL12csrilu0_hashILj256ELj64ELj4E21rocsparse_complex_numIfEEEviPKiS4_PT2_S4_PiS4_S7_S7_d21rocsparse_index_base_imNS_24const_host_device_scalarIfEENS9_IdEENS9_IS5_EEb
		.amdhsa_group_segment_fixed_size 8192
		.amdhsa_private_segment_fixed_size 0
		.amdhsa_kernarg_size 124
		.amdhsa_user_sgpr_count 6
		.amdhsa_user_sgpr_private_segment_buffer 1
		.amdhsa_user_sgpr_dispatch_ptr 0
		.amdhsa_user_sgpr_queue_ptr 0
		.amdhsa_user_sgpr_kernarg_segment_ptr 1
		.amdhsa_user_sgpr_dispatch_id 0
		.amdhsa_user_sgpr_flat_scratch_init 0
		.amdhsa_user_sgpr_private_segment_size 0
		.amdhsa_uses_dynamic_stack 0
		.amdhsa_system_sgpr_private_segment_wavefront_offset 0
		.amdhsa_system_sgpr_workgroup_id_x 1
		.amdhsa_system_sgpr_workgroup_id_y 0
		.amdhsa_system_sgpr_workgroup_id_z 0
		.amdhsa_system_sgpr_workgroup_info 0
		.amdhsa_system_vgpr_workitem_id 0
		.amdhsa_next_free_vgpr 31
		.amdhsa_next_free_sgpr 62
		.amdhsa_reserve_vcc 1
		.amdhsa_reserve_flat_scratch 0
		.amdhsa_float_round_mode_32 0
		.amdhsa_float_round_mode_16_64 0
		.amdhsa_float_denorm_mode_32 3
		.amdhsa_float_denorm_mode_16_64 3
		.amdhsa_dx10_clamp 1
		.amdhsa_ieee_mode 1
		.amdhsa_fp16_overflow 0
		.amdhsa_exception_fp_ieee_invalid_op 0
		.amdhsa_exception_fp_denorm_src 0
		.amdhsa_exception_fp_ieee_div_zero 0
		.amdhsa_exception_fp_ieee_overflow 0
		.amdhsa_exception_fp_ieee_underflow 0
		.amdhsa_exception_fp_ieee_inexact 0
		.amdhsa_exception_int_div_zero 0
	.end_amdhsa_kernel
	.section	.text._ZN9rocsparseL12csrilu0_hashILj256ELj64ELj4E21rocsparse_complex_numIfEEEviPKiS4_PT2_S4_PiS4_S7_S7_d21rocsparse_index_base_imNS_24const_host_device_scalarIfEENS9_IdEENS9_IS5_EEb,"axG",@progbits,_ZN9rocsparseL12csrilu0_hashILj256ELj64ELj4E21rocsparse_complex_numIfEEEviPKiS4_PT2_S4_PiS4_S7_S7_d21rocsparse_index_base_imNS_24const_host_device_scalarIfEENS9_IdEENS9_IS5_EEb,comdat
.Lfunc_end35:
	.size	_ZN9rocsparseL12csrilu0_hashILj256ELj64ELj4E21rocsparse_complex_numIfEEEviPKiS4_PT2_S4_PiS4_S7_S7_d21rocsparse_index_base_imNS_24const_host_device_scalarIfEENS9_IdEENS9_IS5_EEb, .Lfunc_end35-_ZN9rocsparseL12csrilu0_hashILj256ELj64ELj4E21rocsparse_complex_numIfEEEviPKiS4_PT2_S4_PiS4_S7_S7_d21rocsparse_index_base_imNS_24const_host_device_scalarIfEENS9_IdEENS9_IS5_EEb
                                        ; -- End function
	.set _ZN9rocsparseL12csrilu0_hashILj256ELj64ELj4E21rocsparse_complex_numIfEEEviPKiS4_PT2_S4_PiS4_S7_S7_d21rocsparse_index_base_imNS_24const_host_device_scalarIfEENS9_IdEENS9_IS5_EEb.num_vgpr, 31
	.set _ZN9rocsparseL12csrilu0_hashILj256ELj64ELj4E21rocsparse_complex_numIfEEEviPKiS4_PT2_S4_PiS4_S7_S7_d21rocsparse_index_base_imNS_24const_host_device_scalarIfEENS9_IdEENS9_IS5_EEb.num_agpr, 0
	.set _ZN9rocsparseL12csrilu0_hashILj256ELj64ELj4E21rocsparse_complex_numIfEEEviPKiS4_PT2_S4_PiS4_S7_S7_d21rocsparse_index_base_imNS_24const_host_device_scalarIfEENS9_IdEENS9_IS5_EEb.numbered_sgpr, 62
	.set _ZN9rocsparseL12csrilu0_hashILj256ELj64ELj4E21rocsparse_complex_numIfEEEviPKiS4_PT2_S4_PiS4_S7_S7_d21rocsparse_index_base_imNS_24const_host_device_scalarIfEENS9_IdEENS9_IS5_EEb.num_named_barrier, 0
	.set _ZN9rocsparseL12csrilu0_hashILj256ELj64ELj4E21rocsparse_complex_numIfEEEviPKiS4_PT2_S4_PiS4_S7_S7_d21rocsparse_index_base_imNS_24const_host_device_scalarIfEENS9_IdEENS9_IS5_EEb.private_seg_size, 0
	.set _ZN9rocsparseL12csrilu0_hashILj256ELj64ELj4E21rocsparse_complex_numIfEEEviPKiS4_PT2_S4_PiS4_S7_S7_d21rocsparse_index_base_imNS_24const_host_device_scalarIfEENS9_IdEENS9_IS5_EEb.uses_vcc, 1
	.set _ZN9rocsparseL12csrilu0_hashILj256ELj64ELj4E21rocsparse_complex_numIfEEEviPKiS4_PT2_S4_PiS4_S7_S7_d21rocsparse_index_base_imNS_24const_host_device_scalarIfEENS9_IdEENS9_IS5_EEb.uses_flat_scratch, 0
	.set _ZN9rocsparseL12csrilu0_hashILj256ELj64ELj4E21rocsparse_complex_numIfEEEviPKiS4_PT2_S4_PiS4_S7_S7_d21rocsparse_index_base_imNS_24const_host_device_scalarIfEENS9_IdEENS9_IS5_EEb.has_dyn_sized_stack, 0
	.set _ZN9rocsparseL12csrilu0_hashILj256ELj64ELj4E21rocsparse_complex_numIfEEEviPKiS4_PT2_S4_PiS4_S7_S7_d21rocsparse_index_base_imNS_24const_host_device_scalarIfEENS9_IdEENS9_IS5_EEb.has_recursion, 0
	.set _ZN9rocsparseL12csrilu0_hashILj256ELj64ELj4E21rocsparse_complex_numIfEEEviPKiS4_PT2_S4_PiS4_S7_S7_d21rocsparse_index_base_imNS_24const_host_device_scalarIfEENS9_IdEENS9_IS5_EEb.has_indirect_call, 0
	.section	.AMDGPU.csdata,"",@progbits
; Kernel info:
; codeLenInByte = 3164
; TotalNumSgprs: 66
; NumVgprs: 31
; ScratchSize: 0
; MemoryBound: 0
; FloatMode: 240
; IeeeMode: 1
; LDSByteSize: 8192 bytes/workgroup (compile time only)
; SGPRBlocks: 8
; VGPRBlocks: 7
; NumSGPRsForWavesPerEU: 66
; NumVGPRsForWavesPerEU: 31
; Occupancy: 8
; WaveLimiterHint : 1
; COMPUTE_PGM_RSRC2:SCRATCH_EN: 0
; COMPUTE_PGM_RSRC2:USER_SGPR: 6
; COMPUTE_PGM_RSRC2:TRAP_HANDLER: 0
; COMPUTE_PGM_RSRC2:TGID_X_EN: 1
; COMPUTE_PGM_RSRC2:TGID_Y_EN: 0
; COMPUTE_PGM_RSRC2:TGID_Z_EN: 0
; COMPUTE_PGM_RSRC2:TIDIG_COMP_CNT: 0
	.section	.text._ZN9rocsparseL12csrilu0_hashILj256ELj64ELj8E21rocsparse_complex_numIfEEEviPKiS4_PT2_S4_PiS4_S7_S7_d21rocsparse_index_base_imNS_24const_host_device_scalarIfEENS9_IdEENS9_IS5_EEb,"axG",@progbits,_ZN9rocsparseL12csrilu0_hashILj256ELj64ELj8E21rocsparse_complex_numIfEEEviPKiS4_PT2_S4_PiS4_S7_S7_d21rocsparse_index_base_imNS_24const_host_device_scalarIfEENS9_IdEENS9_IS5_EEb,comdat
	.globl	_ZN9rocsparseL12csrilu0_hashILj256ELj64ELj8E21rocsparse_complex_numIfEEEviPKiS4_PT2_S4_PiS4_S7_S7_d21rocsparse_index_base_imNS_24const_host_device_scalarIfEENS9_IdEENS9_IS5_EEb ; -- Begin function _ZN9rocsparseL12csrilu0_hashILj256ELj64ELj8E21rocsparse_complex_numIfEEEviPKiS4_PT2_S4_PiS4_S7_S7_d21rocsparse_index_base_imNS_24const_host_device_scalarIfEENS9_IdEENS9_IS5_EEb
	.p2align	8
	.type	_ZN9rocsparseL12csrilu0_hashILj256ELj64ELj8E21rocsparse_complex_numIfEEEviPKiS4_PT2_S4_PiS4_S7_S7_d21rocsparse_index_base_imNS_24const_host_device_scalarIfEENS9_IdEENS9_IS5_EEb,@function
_ZN9rocsparseL12csrilu0_hashILj256ELj64ELj8E21rocsparse_complex_numIfEEEviPKiS4_PT2_S4_PiS4_S7_S7_d21rocsparse_index_base_imNS_24const_host_device_scalarIfEENS9_IdEENS9_IS5_EEb: ; @_ZN9rocsparseL12csrilu0_hashILj256ELj64ELj8E21rocsparse_complex_numIfEEEviPKiS4_PT2_S4_PiS4_S7_S7_d21rocsparse_index_base_imNS_24const_host_device_scalarIfEENS9_IdEENS9_IS5_EEb
; %bb.0:
	s_load_dword s0, s[4:5], 0x78
	s_load_dwordx2 s[34:35], s[4:5], 0x50
	s_load_dwordx8 s[24:31], s[4:5], 0x58
	s_waitcnt lgkmcnt(0)
	s_bitcmp1_b32 s0, 0
	s_cselect_b64 s[2:3], -1, 0
	s_cmp_eq_u32 s35, 0
	s_cselect_b64 s[12:13], -1, 0
	s_cmp_lg_u32 s35, 0
	s_cselect_b64 s[8:9], -1, 0
	s_or_b64 s[14:15], s[12:13], s[2:3]
	s_xor_b64 s[0:1], s[14:15], -1
	s_and_b64 s[10:11], s[12:13], exec
	s_cselect_b32 s11, 0, s29
	s_cselect_b32 s10, 0, s28
	s_and_b64 vcc, exec, s[14:15]
	s_cbranch_vccnz .LBB36_2
; %bb.1:
	s_load_dword s7, s[26:27], 0x0
	s_mov_b64 s[10:11], s[28:29]
	s_waitcnt lgkmcnt(0)
	v_mov_b32_e32 v18, s7
	v_mov_b32_e32 v3, s10
	s_andn2_b64 vcc, exec, s[0:1]
	v_mov_b32_e32 v4, s11
	s_cbranch_vccz .LBB36_3
	s_branch .LBB36_4
.LBB36_2:
	v_mov_b32_e32 v1, s26
	v_cndmask_b32_e64 v18, v1, 0, s[12:13]
	v_mov_b32_e32 v3, s10
	s_andn2_b64 vcc, exec, s[0:1]
	v_mov_b32_e32 v4, s11
	s_cbranch_vccnz .LBB36_4
.LBB36_3:
	v_mov_b32_e32 v1, s28
	v_mov_b32_e32 v2, s29
	flat_load_dwordx2 v[3:4], v[1:2]
.LBB36_4:
	v_cndmask_b32_e64 v1, 0, 1, s[8:9]
	s_mov_b32 s33, 0
	v_cmp_ne_u32_e64 s[0:1], 1, v1
	s_andn2_b64 vcc, exec, s[8:9]
	s_mov_b32 s35, 0
	s_cbranch_vccnz .LBB36_10
; %bb.5:
	s_xor_b64 s[8:9], s[2:3], -1
	v_cndmask_b32_e64 v1, 0, 1, s[8:9]
	v_cmp_ne_u32_e64 s[2:3], 1, v1
	s_andn2_b64 vcc, exec, s[8:9]
	s_mov_b32 s33, s30
	s_cbranch_vccnz .LBB36_7
; %bb.6:
	s_load_dword s33, s[30:31], 0x0
.LBB36_7:
	s_and_b64 vcc, exec, s[2:3]
	s_cbranch_vccnz .LBB36_9
; %bb.8:
	s_load_dword s31, s[30:31], 0x4
.LBB36_9:
	s_waitcnt lgkmcnt(0)
	s_mov_b32 s35, s31
.LBB36_10:
	v_and_b32_e32 v17, 63, v0
	v_lshrrev_b32_e32 v1, 6, v0
	v_lshlrev_b32_e32 v5, 11, v1
	v_lshlrev_b32_e32 v6, 2, v17
	s_movk_i32 s2, 0x2000
	v_or_b32_e32 v2, 0xffffffc0, v17
	v_or3_b32 v5, v5, v6, s2
	s_mov_b64 s[2:3], 0
	v_mov_b32_e32 v6, -1
	s_movk_i32 s7, 0x1bf
.LBB36_11:                              ; =>This Inner Loop Header: Depth=1
	v_add_u32_e32 v2, 64, v2
	v_cmp_lt_u32_e32 vcc, s7, v2
	ds_write_b32 v5, v6
	s_or_b64 s[2:3], vcc, s[2:3]
	v_add_u32_e32 v5, 0x100, v5
	s_andn2_b64 exec, exec, s[2:3]
	s_cbranch_execnz .LBB36_11
; %bb.12:
	s_or_b64 exec, exec, s[2:3]
	s_load_dword s2, s[4:5], 0x0
	s_lshl_b32 s3, s6, 2
	s_and_b32 s3, s3, 0x3fffffc
	v_or_b32_e32 v1, s3, v1
	s_waitcnt lgkmcnt(0)
	v_cmp_gt_i32_e32 vcc, s2, v1
	s_and_saveexec_b64 s[2:3], vcc
	s_cbranch_execz .LBB36_90
; %bb.13:
	s_load_dwordx16 s[8:23], s[4:5], 0x8
	v_lshlrev_b32_e32 v1, 2, v1
	v_lshlrev_b32_e32 v0, 5, v0
	v_and_b32_e32 v0, 0x1800, v0
	v_or_b32_e32 v19, 0x2000, v0
	s_waitcnt lgkmcnt(0)
	global_load_dword v5, v1, s[18:19]
	v_mov_b32_e32 v7, s9
	v_mov_b32_e32 v10, s15
	s_waitcnt vmcnt(0)
	v_ashrrev_i32_e32 v6, 31, v5
	v_lshlrev_b64 v[1:2], 2, v[5:6]
	v_add_co_u32_e32 v6, vcc, s8, v1
	v_addc_co_u32_e32 v7, vcc, v7, v2, vcc
	global_load_dwordx2 v[7:8], v[6:7], off
	v_add_co_u32_e32 v9, vcc, s14, v1
	v_addc_co_u32_e32 v10, vcc, v10, v2, vcc
	global_load_dword v6, v[9:10], off
	s_waitcnt vmcnt(1)
	v_subrev_u32_e32 v7, s34, v7
	v_subrev_u32_e32 v10, s34, v8
	v_add_u32_e32 v8, v7, v17
	v_cmp_lt_i32_e32 vcc, v8, v10
	s_and_saveexec_b64 s[2:3], vcc
	s_cbranch_execz .LBB36_36
; %bb.14:
	s_mov_b64 s[6:7], 0
	v_mov_b32_e32 v11, s11
	s_movk_i32 s56, 0x67
	v_mov_b32_e32 v12, -1
	s_branch .LBB36_16
.LBB36_15:                              ;   in Loop: Header=BB36_16 Depth=1
	s_or_b64 exec, exec, s[18:19]
	v_add_u32_e32 v8, 64, v8
	v_cmp_ge_i32_e32 vcc, v8, v10
	s_or_b64 s[6:7], vcc, s[6:7]
	s_andn2_b64 exec, exec, s[6:7]
	s_cbranch_execz .LBB36_36
.LBB36_16:                              ; =>This Loop Header: Depth=1
                                        ;     Child Loop BB36_25 Depth 2
	v_ashrrev_i32_e32 v9, 31, v8
	v_lshlrev_b64 v[13:14], 2, v[8:9]
	s_mov_b64 s[26:27], 0
	v_add_co_u32_e32 v13, vcc, s10, v13
	v_addc_co_u32_e32 v14, vcc, v11, v14, vcc
	global_load_dword v9, v[13:14], off
	v_mov_b32_e32 v13, 0x200
                                        ; implicit-def: $sgpr18_sgpr19
                                        ; implicit-def: $sgpr28_sgpr29
                                        ; implicit-def: $sgpr30_sgpr31
	s_waitcnt vmcnt(0)
	v_mul_lo_u32 v15, v9, s56
	s_branch .LBB36_25
.LBB36_17:                              ;   in Loop: Header=BB36_25 Depth=2
	s_or_b64 exec, exec, s[54:55]
	s_orn2_b64 s[50:51], s[50:51], exec
	s_orn2_b64 s[52:53], s[52:53], exec
.LBB36_18:                              ;   in Loop: Header=BB36_25 Depth=2
	s_or_b64 exec, exec, s[48:49]
	s_and_b64 s[50:51], s[50:51], exec
	s_orn2_b64 s[48:49], s[52:53], exec
.LBB36_19:                              ;   in Loop: Header=BB36_25 Depth=2
	s_or_b64 exec, exec, s[46:47]
	s_orn2_b64 s[50:51], s[50:51], exec
	s_orn2_b64 s[46:47], s[48:49], exec
.LBB36_20:                              ;   in Loop: Header=BB36_25 Depth=2
	s_or_b64 exec, exec, s[44:45]
	s_and_b64 s[48:49], s[50:51], exec
	s_orn2_b64 s[44:45], s[46:47], exec
.LBB36_21:                              ;   in Loop: Header=BB36_25 Depth=2
	s_or_b64 exec, exec, s[42:43]
	s_orn2_b64 s[42:43], s[48:49], exec
	s_orn2_b64 s[44:45], s[44:45], exec
.LBB36_22:                              ;   in Loop: Header=BB36_25 Depth=2
	s_or_b64 exec, exec, s[40:41]
	s_and_b64 s[42:43], s[42:43], exec
	s_orn2_b64 s[40:41], s[44:45], exec
.LBB36_23:                              ;   in Loop: Header=BB36_25 Depth=2
	s_or_b64 exec, exec, s[38:39]
	s_andn2_b64 s[30:31], s[30:31], exec
	s_and_b64 s[38:39], s[42:43], exec
	s_or_b64 s[30:31], s[30:31], s[38:39]
	s_andn2_b64 s[28:29], s[28:29], exec
	s_and_b64 s[38:39], s[40:41], exec
	s_or_b64 s[28:29], s[28:29], s[38:39]
.LBB36_24:                              ;   in Loop: Header=BB36_25 Depth=2
	s_or_b64 exec, exec, s[36:37]
	s_and_b64 s[36:37], exec, s[28:29]
	s_or_b64 s[26:27], s[36:37], s[26:27]
	s_andn2_b64 s[18:19], s[18:19], exec
	s_and_b64 s[36:37], s[30:31], exec
	s_or_b64 s[18:19], s[18:19], s[36:37]
	s_andn2_b64 exec, exec, s[26:27]
	s_cbranch_execz .LBB36_34
.LBB36_25:                              ;   Parent Loop BB36_16 Depth=1
                                        ; =>  This Inner Loop Header: Depth=2
	v_and_b32_e32 v14, 0x1ff, v15
	v_lshl_add_u32 v16, v14, 2, v19
	ds_read_b32 v20, v16
	s_or_b64 s[30:31], s[30:31], exec
	s_or_b64 s[28:29], s[28:29], exec
	s_waitcnt lgkmcnt(0)
	v_cmp_ne_u32_e32 vcc, v20, v9
	s_and_saveexec_b64 s[36:37], vcc
	s_cbranch_execz .LBB36_24
; %bb.26:                               ;   in Loop: Header=BB36_25 Depth=2
	ds_cmpst_rtn_b32 v16, v16, v12, v9
	s_mov_b64 s[40:41], -1
	s_mov_b64 s[42:43], 0
	s_waitcnt lgkmcnt(0)
	v_cmp_ne_u32_e32 vcc, -1, v16
	s_and_saveexec_b64 s[38:39], vcc
	s_cbranch_execz .LBB36_23
; %bb.27:                               ;   in Loop: Header=BB36_25 Depth=2
	v_add_u32_e32 v14, 1, v15
	v_and_b32_e32 v14, 0x1ff, v14
	v_lshl_add_u32 v16, v14, 2, v19
	ds_read_b32 v20, v16
	s_mov_b64 s[44:45], -1
	s_mov_b64 s[42:43], -1
	s_waitcnt lgkmcnt(0)
	v_cmp_ne_u32_e32 vcc, v20, v9
	s_and_saveexec_b64 s[40:41], vcc
	s_cbranch_execz .LBB36_22
; %bb.28:                               ;   in Loop: Header=BB36_25 Depth=2
	ds_cmpst_rtn_b32 v16, v16, v12, v9
	s_mov_b64 s[48:49], 0
	s_waitcnt lgkmcnt(0)
	v_cmp_ne_u32_e32 vcc, -1, v16
	s_and_saveexec_b64 s[42:43], vcc
	s_cbranch_execz .LBB36_21
; %bb.29:                               ;   in Loop: Header=BB36_25 Depth=2
	v_add_u32_e32 v14, 2, v15
	v_and_b32_e32 v14, 0x1ff, v14
	v_lshl_add_u32 v16, v14, 2, v19
	ds_read_b32 v20, v16
	s_mov_b64 s[46:47], -1
	s_mov_b64 s[50:51], -1
	s_waitcnt lgkmcnt(0)
	v_cmp_ne_u32_e32 vcc, v20, v9
	s_and_saveexec_b64 s[44:45], vcc
	s_cbranch_execz .LBB36_20
; %bb.30:                               ;   in Loop: Header=BB36_25 Depth=2
	ds_cmpst_rtn_b32 v16, v16, v12, v9
	s_mov_b64 s[48:49], -1
	s_mov_b64 s[50:51], 0
	s_waitcnt lgkmcnt(0)
	v_cmp_ne_u32_e32 vcc, -1, v16
	s_and_saveexec_b64 s[46:47], vcc
	s_cbranch_execz .LBB36_19
; %bb.31:                               ;   in Loop: Header=BB36_25 Depth=2
	v_add_u32_e32 v14, 3, v15
	v_and_b32_e32 v14, 0x1ff, v14
	v_lshl_add_u32 v16, v14, 2, v19
	ds_read_b32 v15, v16
	s_mov_b64 s[52:53], -1
	s_mov_b64 s[50:51], -1
	s_waitcnt lgkmcnt(0)
	v_cmp_ne_u32_e32 vcc, v15, v9
                                        ; implicit-def: $vgpr15
	s_and_saveexec_b64 s[48:49], vcc
	s_cbranch_execz .LBB36_18
; %bb.32:                               ;   in Loop: Header=BB36_25 Depth=2
	ds_cmpst_rtn_b32 v15, v16, v12, v9
	s_mov_b64 s[50:51], 0
	s_waitcnt lgkmcnt(0)
	v_cmp_ne_u32_e32 vcc, -1, v15
                                        ; implicit-def: $vgpr15
	s_and_saveexec_b64 s[54:55], vcc
	s_cbranch_execz .LBB36_17
; %bb.33:                               ;   in Loop: Header=BB36_25 Depth=2
	v_add_u32_e32 v13, -4, v13
	v_cmp_eq_u32_e32 vcc, 0, v13
	s_mov_b64 s[50:51], exec
	v_add_u32_e32 v15, 1, v14
	s_orn2_b64 s[52:53], vcc, exec
	s_branch .LBB36_17
.LBB36_34:                              ;   in Loop: Header=BB36_16 Depth=1
	s_or_b64 exec, exec, s[26:27]
	s_xor_b64 s[18:19], s[18:19], -1
	s_and_saveexec_b64 s[26:27], s[18:19]
	s_xor_b64 s[18:19], exec, s[26:27]
	s_cbranch_execz .LBB36_15
; %bb.35:                               ;   in Loop: Header=BB36_16 Depth=1
	v_lshl_add_u32 v9, v14, 2, v0
	ds_write_b32 v9, v8
	s_branch .LBB36_15
.LBB36_36:
	s_or_b64 exec, exec, s[2:3]
	s_waitcnt vmcnt(0)
	v_cmp_lt_i32_e32 vcc, v7, v6
	s_waitcnt lgkmcnt(0)
	s_and_saveexec_b64 s[6:7], vcc
	s_cbranch_execz .LBB36_66
; %bb.37:
	v_add_u32_e32 v20, 1, v17
	s_mov_b64 s[18:19], 0
	v_mov_b32_e32 v21, s11
	v_mov_b32_e32 v22, s13
	v_mov_b32_e32 v23, s9
	v_mov_b32_e32 v24, s15
	v_mov_b32_e32 v25, s17
	s_movk_i32 s9, 0x67
	s_branch .LBB36_40
.LBB36_38:                              ;   in Loop: Header=BB36_40 Depth=1
	s_or_b64 exec, exec, s[26:27]
	v_add_u32_e32 v7, 1, v7
	v_cmp_ge_i32_e32 vcc, v7, v6
	s_orn2_b64 s[26:27], vcc, exec
.LBB36_39:                              ;   in Loop: Header=BB36_40 Depth=1
	s_or_b64 exec, exec, s[2:3]
	s_and_b64 s[2:3], exec, s[26:27]
	s_or_b64 s[18:19], s[2:3], s[18:19]
	s_andn2_b64 exec, exec, s[18:19]
	s_cbranch_execz .LBB36_66
.LBB36_40:                              ; =>This Loop Header: Depth=1
                                        ;     Child Loop BB36_41 Depth 2
                                        ;     Child Loop BB36_46 Depth 2
                                        ;       Child Loop BB36_55 Depth 3
	v_ashrrev_i32_e32 v8, 31, v7
	v_lshlrev_b64 v[9:10], 2, v[7:8]
	s_mov_b64 s[2:3], 0
	v_add_co_u32_e32 v9, vcc, s10, v9
	v_addc_co_u32_e32 v10, vcc, v21, v10, vcc
	global_load_dword v11, v[9:10], off
	v_lshlrev_b64 v[8:9], 3, v[7:8]
	v_add_co_u32_e32 v12, vcc, s12, v8
	v_addc_co_u32_e32 v13, vcc, v22, v9, vcc
	global_load_dwordx2 v[9:10], v[12:13], off
	s_waitcnt vmcnt(1)
	v_subrev_u32_e32 v14, s34, v11
	v_ashrrev_i32_e32 v15, 31, v14
	v_lshlrev_b64 v[14:15], 2, v[14:15]
	v_add_co_u32_e32 v26, vcc, s8, v14
	v_addc_co_u32_e32 v27, vcc, v23, v15, vcc
	v_add_co_u32_e32 v28, vcc, s14, v14
	v_addc_co_u32_e32 v29, vcc, v24, v15, vcc
	global_load_dword v8, v[26:27], off offset:4
	global_load_dword v11, v[28:29], off
	v_add_co_u32_e32 v14, vcc, s16, v14
	v_addc_co_u32_e32 v15, vcc, v25, v15, vcc
.LBB36_41:                              ;   Parent Loop BB36_40 Depth=1
                                        ; =>  This Inner Loop Header: Depth=2
	global_load_dword v16, v[14:15], off glc
	s_waitcnt vmcnt(0)
	v_cmp_ne_u32_e32 vcc, 0, v16
	s_or_b64 s[2:3], vcc, s[2:3]
	s_andn2_b64 exec, exec, s[2:3]
	s_cbranch_execnz .LBB36_41
; %bb.42:                               ;   in Loop: Header=BB36_40 Depth=1
	s_or_b64 exec, exec, s[2:3]
	v_subrev_u32_e32 v26, s34, v8
	v_add_u32_e32 v8, -1, v26
	v_cmp_eq_u32_e32 vcc, -1, v11
	v_cndmask_b32_e32 v14, v11, v8, vcc
	v_ashrrev_i32_e32 v15, 31, v14
	v_lshlrev_b64 v[15:16], 3, v[14:15]
	buffer_wbinvl1_vol
	v_add_co_u32_e32 v15, vcc, s12, v15
	v_addc_co_u32_e32 v16, vcc, v22, v16, vcc
	global_load_dwordx2 v[15:16], v[15:16], off
	s_mov_b64 s[26:27], -1
	s_waitcnt vmcnt(0)
	v_cmp_neq_f32_e32 vcc, 0, v15
	v_cmp_neq_f32_e64 s[2:3], 0, v16
	s_or_b64 s[28:29], vcc, s[2:3]
	s_and_saveexec_b64 s[2:3], s[28:29]
	s_cbranch_execz .LBB36_39
; %bb.43:                               ;   in Loop: Header=BB36_40 Depth=1
	v_mul_f32_e32 v11, v16, v16
	v_fmac_f32_e32 v11, v15, v15
	v_div_scale_f32 v8, s[26:27], v11, v11, 1.0
	v_div_scale_f32 v27, vcc, 1.0, v11, 1.0
	v_rcp_f32_e32 v28, v8
	v_fma_f32 v29, -v8, v28, 1.0
	v_fmac_f32_e32 v28, v29, v28
	v_mul_f32_e32 v29, v27, v28
	v_fma_f32 v30, -v8, v29, v27
	v_fmac_f32_e32 v29, v30, v28
	v_fma_f32 v8, -v8, v29, v27
	v_div_fmas_f32 v27, v8, v28, v29
	v_mul_f32_e32 v28, v10, v16
	v_mul_f32_e64 v16, v16, -v9
	v_add_u32_e32 v8, v20, v14
	v_fmac_f32_e32 v28, v9, v15
	v_fmac_f32_e32 v16, v10, v15
	v_cmp_lt_i32_e32 vcc, v8, v26
	v_div_fixup_f32 v9, v27, v11, 1.0
	v_mul_f32_e32 v10, v28, v9
	v_mul_f32_e32 v11, v16, v9
	global_store_dwordx2 v[12:13], v[10:11], off
	s_and_saveexec_b64 s[26:27], vcc
	s_cbranch_execz .LBB36_38
; %bb.44:                               ;   in Loop: Header=BB36_40 Depth=1
	s_mov_b64 s[28:29], 0
	s_branch .LBB36_46
.LBB36_45:                              ;   in Loop: Header=BB36_46 Depth=2
	s_or_b64 exec, exec, s[30:31]
	v_add_u32_e32 v8, 64, v8
	v_cmp_ge_i32_e32 vcc, v8, v26
	s_or_b64 s[28:29], vcc, s[28:29]
	s_andn2_b64 exec, exec, s[28:29]
	s_cbranch_execz .LBB36_38
.LBB36_46:                              ;   Parent Loop BB36_40 Depth=1
                                        ; =>  This Loop Header: Depth=2
                                        ;       Child Loop BB36_55 Depth 3
	v_ashrrev_i32_e32 v9, 31, v8
	v_lshlrev_b64 v[12:13], 2, v[8:9]
	s_mov_b64 s[36:37], 0
	v_add_co_u32_e32 v12, vcc, s10, v12
	v_addc_co_u32_e32 v13, vcc, v21, v13, vcc
	global_load_dword v12, v[12:13], off
	v_mov_b32_e32 v13, 0x200
                                        ; implicit-def: $sgpr30_sgpr31
                                        ; implicit-def: $sgpr38_sgpr39
                                        ; implicit-def: $sgpr40_sgpr41
	s_waitcnt vmcnt(0)
	v_mul_lo_u32 v15, v12, s9
	s_branch .LBB36_55
.LBB36_47:                              ;   in Loop: Header=BB36_55 Depth=3
	s_or_b64 exec, exec, s[60:61]
	s_orn2_b64 s[56:57], s[56:57], exec
	s_orn2_b64 s[58:59], s[58:59], exec
.LBB36_48:                              ;   in Loop: Header=BB36_55 Depth=3
	s_or_b64 exec, exec, s[54:55]
	s_and_b64 s[56:57], s[56:57], exec
	s_orn2_b64 s[54:55], s[58:59], exec
.LBB36_49:                              ;   in Loop: Header=BB36_55 Depth=3
	s_or_b64 exec, exec, s[52:53]
	s_orn2_b64 s[56:57], s[56:57], exec
	s_orn2_b64 s[52:53], s[54:55], exec
.LBB36_50:                              ;   in Loop: Header=BB36_55 Depth=3
	s_or_b64 exec, exec, s[50:51]
	s_and_b64 s[54:55], s[56:57], exec
	s_orn2_b64 s[50:51], s[52:53], exec
.LBB36_51:                              ;   in Loop: Header=BB36_55 Depth=3
	s_or_b64 exec, exec, s[48:49]
	s_orn2_b64 s[48:49], s[54:55], exec
	s_orn2_b64 s[50:51], s[50:51], exec
.LBB36_52:                              ;   in Loop: Header=BB36_55 Depth=3
	s_or_b64 exec, exec, s[46:47]
	s_and_b64 s[48:49], s[48:49], exec
	s_orn2_b64 s[46:47], s[50:51], exec
.LBB36_53:                              ;   in Loop: Header=BB36_55 Depth=3
	s_or_b64 exec, exec, s[44:45]
	s_andn2_b64 s[40:41], s[40:41], exec
	s_and_b64 s[44:45], s[48:49], exec
	s_or_b64 s[40:41], s[40:41], s[44:45]
	s_andn2_b64 s[38:39], s[38:39], exec
	s_and_b64 s[44:45], s[46:47], exec
	s_or_b64 s[38:39], s[38:39], s[44:45]
.LBB36_54:                              ;   in Loop: Header=BB36_55 Depth=3
	s_or_b64 exec, exec, s[42:43]
	s_and_b64 s[42:43], exec, s[38:39]
	s_or_b64 s[36:37], s[42:43], s[36:37]
	s_andn2_b64 s[30:31], s[30:31], exec
	s_and_b64 s[42:43], s[40:41], exec
	s_or_b64 s[30:31], s[30:31], s[42:43]
	s_andn2_b64 exec, exec, s[36:37]
	s_cbranch_execz .LBB36_64
.LBB36_55:                              ;   Parent Loop BB36_40 Depth=1
                                        ;     Parent Loop BB36_46 Depth=2
                                        ; =>    This Inner Loop Header: Depth=3
	v_and_b32_e32 v14, 0x1ff, v15
	v_lshl_add_u32 v16, v14, 2, v19
	ds_read_b32 v16, v16
	s_or_b64 s[40:41], s[40:41], exec
	s_or_b64 s[38:39], s[38:39], exec
	s_waitcnt lgkmcnt(0)
	v_cmp_ne_u32_e32 vcc, -1, v16
	s_and_saveexec_b64 s[42:43], vcc
	s_cbranch_execz .LBB36_54
; %bb.56:                               ;   in Loop: Header=BB36_55 Depth=3
	v_cmp_ne_u32_e32 vcc, v16, v12
	s_mov_b64 s[46:47], -1
	s_mov_b64 s[48:49], 0
	s_and_saveexec_b64 s[44:45], vcc
	s_cbranch_execz .LBB36_53
; %bb.57:                               ;   in Loop: Header=BB36_55 Depth=3
	v_add_u32_e32 v14, 1, v15
	v_and_b32_e32 v14, 0x1ff, v14
	v_lshl_add_u32 v16, v14, 2, v19
	ds_read_b32 v16, v16
	s_mov_b64 s[50:51], -1
	s_mov_b64 s[48:49], -1
	s_waitcnt lgkmcnt(0)
	v_cmp_ne_u32_e32 vcc, -1, v16
	s_and_saveexec_b64 s[46:47], vcc
	s_cbranch_execz .LBB36_52
; %bb.58:                               ;   in Loop: Header=BB36_55 Depth=3
	v_cmp_ne_u32_e32 vcc, v16, v12
	s_mov_b64 s[54:55], 0
	s_and_saveexec_b64 s[48:49], vcc
	s_cbranch_execz .LBB36_51
; %bb.59:                               ;   in Loop: Header=BB36_55 Depth=3
	v_add_u32_e32 v14, 2, v15
	v_and_b32_e32 v14, 0x1ff, v14
	v_lshl_add_u32 v16, v14, 2, v19
	ds_read_b32 v16, v16
	s_mov_b64 s[52:53], -1
	s_mov_b64 s[56:57], -1
	s_waitcnt lgkmcnt(0)
	v_cmp_ne_u32_e32 vcc, -1, v16
	s_and_saveexec_b64 s[50:51], vcc
	s_cbranch_execz .LBB36_50
; %bb.60:                               ;   in Loop: Header=BB36_55 Depth=3
	v_cmp_ne_u32_e32 vcc, v16, v12
	s_mov_b64 s[54:55], -1
	s_mov_b64 s[56:57], 0
	s_and_saveexec_b64 s[52:53], vcc
	s_cbranch_execz .LBB36_49
; %bb.61:                               ;   in Loop: Header=BB36_55 Depth=3
	v_add_u32_e32 v14, 3, v15
	v_and_b32_e32 v14, 0x1ff, v14
	v_lshl_add_u32 v15, v14, 2, v19
	ds_read_b32 v16, v15
	s_mov_b64 s[58:59], -1
	s_mov_b64 s[56:57], -1
                                        ; implicit-def: $vgpr15
	s_waitcnt lgkmcnt(0)
	v_cmp_ne_u32_e32 vcc, -1, v16
	s_and_saveexec_b64 s[54:55], vcc
	s_cbranch_execz .LBB36_48
; %bb.62:                               ;   in Loop: Header=BB36_55 Depth=3
	v_cmp_ne_u32_e32 vcc, v16, v12
	s_mov_b64 s[56:57], 0
                                        ; implicit-def: $vgpr15
	s_and_saveexec_b64 s[60:61], vcc
	s_cbranch_execz .LBB36_47
; %bb.63:                               ;   in Loop: Header=BB36_55 Depth=3
	v_add_u32_e32 v13, -4, v13
	v_cmp_eq_u32_e32 vcc, 0, v13
	s_mov_b64 s[56:57], exec
	v_add_u32_e32 v15, 1, v14
	s_orn2_b64 s[58:59], vcc, exec
	s_branch .LBB36_47
.LBB36_64:                              ;   in Loop: Header=BB36_46 Depth=2
	s_or_b64 exec, exec, s[36:37]
	s_xor_b64 s[30:31], s[30:31], -1
	s_and_saveexec_b64 s[36:37], s[30:31]
	s_xor_b64 s[30:31], exec, s[36:37]
	s_cbranch_execz .LBB36_45
; %bb.65:                               ;   in Loop: Header=BB36_46 Depth=2
	v_lshl_add_u32 v12, v14, 2, v0
	ds_read_b32 v12, v12
	v_lshlrev_b64 v[14:15], 3, v[8:9]
	v_add_co_u32_e32 v14, vcc, s12, v14
	s_waitcnt lgkmcnt(0)
	v_ashrrev_i32_e32 v13, 31, v12
	v_lshlrev_b64 v[12:13], 3, v[12:13]
	v_addc_co_u32_e32 v15, vcc, v22, v15, vcc
	v_add_co_u32_e32 v12, vcc, s12, v12
	v_addc_co_u32_e32 v13, vcc, v22, v13, vcc
	global_load_dwordx2 v[27:28], v[14:15], off
	global_load_dwordx2 v[29:30], v[12:13], off
	s_waitcnt vmcnt(0)
	v_fma_f32 v14, -v10, v27, v29
	v_fma_f32 v9, -v11, v27, v30
	v_fmac_f32_e32 v14, v11, v28
	v_fma_f32 v15, -v10, v28, v9
	global_store_dwordx2 v[12:13], v[14:15], off
	s_branch .LBB36_45
.LBB36_66:
	s_or_b64 exec, exec, s[6:7]
	v_cmp_lt_i32_e32 vcc, -1, v6
	s_and_saveexec_b64 s[6:7], vcc
	s_cbranch_execz .LBB36_88
; %bb.67:
	v_mov_b32_e32 v7, 0
	v_lshlrev_b64 v[8:9], 3, v[6:7]
	v_mov_b32_e32 v0, s13
	v_add_co_u32_e32 v10, vcc, s12, v8
	v_addc_co_u32_e32 v11, vcc, v0, v9, vcc
	global_load_dwordx2 v[8:9], v[10:11], off
	s_waitcnt vmcnt(0)
	v_cmp_gt_f32_e32 vcc, 0, v8
	v_cndmask_b32_e64 v0, v8, -v8, vcc
	v_cmp_gt_f32_e32 vcc, 0, v9
	v_cndmask_b32_e64 v6, v9, -v9, vcc
	v_cmp_ngt_f32_e32 vcc, v0, v6
	s_and_saveexec_b64 s[2:3], vcc
	s_xor_b64 s[8:9], exec, s[2:3]
	s_cbranch_execz .LBB36_71
; %bb.68:
	v_cmp_neq_f32_e32 vcc, 0, v9
	s_and_saveexec_b64 s[10:11], vcc
	s_cbranch_execz .LBB36_70
; %bb.69:
	v_div_scale_f32 v7, s[2:3], v6, v6, v0
	v_div_scale_f32 v12, vcc, v0, v6, v0
	s_mov_b32 s2, 0xf800000
	v_rcp_f32_e32 v13, v7
	v_fma_f32 v14, -v7, v13, 1.0
	v_fmac_f32_e32 v13, v14, v13
	v_mul_f32_e32 v14, v12, v13
	v_fma_f32 v15, -v7, v14, v12
	v_fmac_f32_e32 v14, v15, v13
	v_fma_f32 v7, -v7, v14, v12
	v_div_fmas_f32 v7, v7, v13, v14
	v_mov_b32_e32 v12, 0x260
	v_div_fixup_f32 v0, v7, v6, v0
	v_fma_f32 v0, v0, v0, 1.0
	v_mul_f32_e32 v7, 0x4f800000, v0
	v_cmp_gt_f32_e32 vcc, s2, v0
	v_cndmask_b32_e32 v0, v0, v7, vcc
	v_sqrt_f32_e32 v7, v0
	v_add_u32_e32 v13, -1, v7
	v_add_u32_e32 v14, 1, v7
	v_fma_f32 v15, -v13, v7, v0
	v_fma_f32 v16, -v14, v7, v0
	v_cmp_ge_f32_e64 s[2:3], 0, v15
	v_cndmask_b32_e64 v7, v7, v13, s[2:3]
	v_cmp_lt_f32_e64 s[2:3], 0, v16
	v_cndmask_b32_e64 v7, v7, v14, s[2:3]
	v_mul_f32_e32 v13, 0x37800000, v7
	v_cndmask_b32_e32 v7, v7, v13, vcc
	v_cmp_class_f32_e32 vcc, v0, v12
	v_cndmask_b32_e32 v0, v7, v0, vcc
	v_mul_f32_e32 v7, v6, v0
.LBB36_70:
	s_or_b64 exec, exec, s[10:11]
                                        ; implicit-def: $vgpr0
                                        ; implicit-def: $vgpr6
.LBB36_71:
	s_andn2_saveexec_b64 s[8:9], s[8:9]
	s_cbranch_execz .LBB36_73
; %bb.72:
	v_div_scale_f32 v7, s[2:3], v0, v0, v6
	v_div_scale_f32 v12, vcc, v6, v0, v6
	s_mov_b32 s2, 0xf800000
	v_rcp_f32_e32 v13, v7
	v_fma_f32 v14, -v7, v13, 1.0
	v_fmac_f32_e32 v13, v14, v13
	v_mul_f32_e32 v14, v12, v13
	v_fma_f32 v15, -v7, v14, v12
	v_fmac_f32_e32 v14, v15, v13
	v_fma_f32 v7, -v7, v14, v12
	v_div_fmas_f32 v7, v7, v13, v14
	v_mov_b32_e32 v12, 0x260
	v_div_fixup_f32 v6, v7, v0, v6
	v_fma_f32 v6, v6, v6, 1.0
	v_mul_f32_e32 v7, 0x4f800000, v6
	v_cmp_gt_f32_e32 vcc, s2, v6
	v_cndmask_b32_e32 v6, v6, v7, vcc
	v_sqrt_f32_e32 v7, v6
	v_add_u32_e32 v13, -1, v7
	v_add_u32_e32 v14, 1, v7
	v_fma_f32 v15, -v13, v7, v6
	v_fma_f32 v16, -v14, v7, v6
	v_cmp_ge_f32_e64 s[2:3], 0, v15
	v_cndmask_b32_e64 v7, v7, v13, s[2:3]
	v_cmp_lt_f32_e64 s[2:3], 0, v16
	v_cndmask_b32_e64 v7, v7, v14, s[2:3]
	v_mul_f32_e32 v13, 0x37800000, v7
	v_cndmask_b32_e32 v7, v7, v13, vcc
	v_cmp_class_f32_e32 vcc, v6, v12
	v_cndmask_b32_e32 v6, v7, v6, vcc
	v_mul_f32_e32 v7, v0, v6
.LBB36_73:
	s_or_b64 exec, exec, s[8:9]
	v_cvt_f64_f32_e32 v[6:7], v7
	v_cmp_eq_u32_e64 s[2:3], 0, v17
	s_and_b64 vcc, exec, s[0:1]
	s_mov_b64 s[0:1], -1
	s_cbranch_vccnz .LBB36_77
; %bb.74:
	v_cvt_f64_f32_e32 v[12:13], v18
	s_cmp_eq_u64 s[24:25], 8
	s_cselect_b64 vcc, -1, 0
	v_cndmask_b32_e32 v4, v13, v4, vcc
	v_cndmask_b32_e32 v3, v12, v3, vcc
	v_cmp_ge_f64_e32 vcc, v[3:4], v[6:7]
	s_and_b64 s[8:9], s[2:3], vcc
	s_and_saveexec_b64 s[0:1], s[8:9]
	s_cbranch_execz .LBB36_76
; %bb.75:
	v_mov_b32_e32 v3, s33
	v_mov_b32_e32 v4, s35
	global_store_dwordx2 v[10:11], v[3:4], off
	s_waitcnt vmcnt(0)
	buffer_wbinvl1_vol
.LBB36_76:
	s_or_b64 exec, exec, s[0:1]
	s_mov_b64 s[0:1], 0
.LBB36_77:
	s_andn2_b64 vcc, exec, s[0:1]
	s_cbranch_vccnz .LBB36_88
; %bb.78:
	s_load_dwordx2 s[0:1], s[4:5], 0x48
	v_add_u32_e32 v0, s34, v5
	s_waitcnt lgkmcnt(0)
	v_cmp_ge_f64_e32 vcc, s[0:1], v[6:7]
	s_and_b64 s[4:5], s[2:3], vcc
	s_and_saveexec_b64 s[0:1], s[4:5]
	s_cbranch_execz .LBB36_83
; %bb.79:
	s_mov_b64 s[4:5], exec
	s_brev_b32 s8, -2
.LBB36_80:                              ; =>This Inner Loop Header: Depth=1
	s_ff1_i32_b64 s9, s[4:5]
	v_readlane_b32 s12, v0, s9
	s_lshl_b64 s[10:11], 1, s9
	s_min_i32 s8, s8, s12
	s_andn2_b64 s[4:5], s[4:5], s[10:11]
	s_cmp_lg_u64 s[4:5], 0
	s_cbranch_scc1 .LBB36_80
; %bb.81:
	v_mbcnt_lo_u32_b32 v3, exec_lo, 0
	v_mbcnt_hi_u32_b32 v3, exec_hi, v3
	v_cmp_eq_u32_e32 vcc, 0, v3
	s_and_saveexec_b64 s[4:5], vcc
	s_xor_b64 s[4:5], exec, s[4:5]
	s_cbranch_execz .LBB36_83
; %bb.82:
	v_mov_b32_e32 v3, 0
	v_mov_b32_e32 v4, s8
	global_atomic_smin v3, v4, s[22:23]
.LBB36_83:
	s_or_b64 exec, exec, s[0:1]
	v_cmp_eq_f32_e32 vcc, 0, v8
	v_cmp_eq_f32_e64 s[0:1], 0, v9
	s_and_b64 s[0:1], vcc, s[0:1]
	s_and_b64 s[0:1], s[2:3], s[0:1]
	s_and_b64 exec, exec, s[0:1]
	s_cbranch_execz .LBB36_88
; %bb.84:
	s_mov_b64 s[0:1], exec
	s_brev_b32 s2, -2
.LBB36_85:                              ; =>This Inner Loop Header: Depth=1
	s_ff1_i32_b64 s3, s[0:1]
	v_readlane_b32 s8, v0, s3
	s_lshl_b64 s[4:5], 1, s3
	s_min_i32 s2, s2, s8
	s_andn2_b64 s[0:1], s[0:1], s[4:5]
	s_cmp_lg_u64 s[0:1], 0
	s_cbranch_scc1 .LBB36_85
; %bb.86:
	v_mbcnt_lo_u32_b32 v0, exec_lo, 0
	v_mbcnt_hi_u32_b32 v0, exec_hi, v0
	v_cmp_eq_u32_e32 vcc, 0, v0
	s_and_saveexec_b64 s[0:1], vcc
	s_xor_b64 s[0:1], exec, s[0:1]
	s_cbranch_execz .LBB36_88
; %bb.87:
	v_mov_b32_e32 v0, 0
	v_mov_b32_e32 v3, s2
	global_atomic_smin v0, v3, s[20:21]
.LBB36_88:
	s_or_b64 exec, exec, s[6:7]
	v_cmp_eq_u32_e32 vcc, 0, v17
	s_waitcnt vmcnt(0)
	buffer_wbinvl1_vol
	s_and_b64 exec, exec, vcc
	s_cbranch_execz .LBB36_90
; %bb.89:
	v_mov_b32_e32 v3, s17
	v_add_co_u32_e32 v0, vcc, s16, v1
	v_addc_co_u32_e32 v1, vcc, v3, v2, vcc
	v_mov_b32_e32 v2, 1
	global_store_dword v[0:1], v2, off
.LBB36_90:
	s_endpgm
	.section	.rodata,"a",@progbits
	.p2align	6, 0x0
	.amdhsa_kernel _ZN9rocsparseL12csrilu0_hashILj256ELj64ELj8E21rocsparse_complex_numIfEEEviPKiS4_PT2_S4_PiS4_S7_S7_d21rocsparse_index_base_imNS_24const_host_device_scalarIfEENS9_IdEENS9_IS5_EEb
		.amdhsa_group_segment_fixed_size 16384
		.amdhsa_private_segment_fixed_size 0
		.amdhsa_kernarg_size 124
		.amdhsa_user_sgpr_count 6
		.amdhsa_user_sgpr_private_segment_buffer 1
		.amdhsa_user_sgpr_dispatch_ptr 0
		.amdhsa_user_sgpr_queue_ptr 0
		.amdhsa_user_sgpr_kernarg_segment_ptr 1
		.amdhsa_user_sgpr_dispatch_id 0
		.amdhsa_user_sgpr_flat_scratch_init 0
		.amdhsa_user_sgpr_private_segment_size 0
		.amdhsa_uses_dynamic_stack 0
		.amdhsa_system_sgpr_private_segment_wavefront_offset 0
		.amdhsa_system_sgpr_workgroup_id_x 1
		.amdhsa_system_sgpr_workgroup_id_y 0
		.amdhsa_system_sgpr_workgroup_id_z 0
		.amdhsa_system_sgpr_workgroup_info 0
		.amdhsa_system_vgpr_workitem_id 0
		.amdhsa_next_free_vgpr 49
		.amdhsa_next_free_sgpr 98
		.amdhsa_reserve_vcc 1
		.amdhsa_reserve_flat_scratch 0
		.amdhsa_float_round_mode_32 0
		.amdhsa_float_round_mode_16_64 0
		.amdhsa_float_denorm_mode_32 3
		.amdhsa_float_denorm_mode_16_64 3
		.amdhsa_dx10_clamp 1
		.amdhsa_ieee_mode 1
		.amdhsa_fp16_overflow 0
		.amdhsa_exception_fp_ieee_invalid_op 0
		.amdhsa_exception_fp_denorm_src 0
		.amdhsa_exception_fp_ieee_div_zero 0
		.amdhsa_exception_fp_ieee_overflow 0
		.amdhsa_exception_fp_ieee_underflow 0
		.amdhsa_exception_fp_ieee_inexact 0
		.amdhsa_exception_int_div_zero 0
	.end_amdhsa_kernel
	.section	.text._ZN9rocsparseL12csrilu0_hashILj256ELj64ELj8E21rocsparse_complex_numIfEEEviPKiS4_PT2_S4_PiS4_S7_S7_d21rocsparse_index_base_imNS_24const_host_device_scalarIfEENS9_IdEENS9_IS5_EEb,"axG",@progbits,_ZN9rocsparseL12csrilu0_hashILj256ELj64ELj8E21rocsparse_complex_numIfEEEviPKiS4_PT2_S4_PiS4_S7_S7_d21rocsparse_index_base_imNS_24const_host_device_scalarIfEENS9_IdEENS9_IS5_EEb,comdat
.Lfunc_end36:
	.size	_ZN9rocsparseL12csrilu0_hashILj256ELj64ELj8E21rocsparse_complex_numIfEEEviPKiS4_PT2_S4_PiS4_S7_S7_d21rocsparse_index_base_imNS_24const_host_device_scalarIfEENS9_IdEENS9_IS5_EEb, .Lfunc_end36-_ZN9rocsparseL12csrilu0_hashILj256ELj64ELj8E21rocsparse_complex_numIfEEEviPKiS4_PT2_S4_PiS4_S7_S7_d21rocsparse_index_base_imNS_24const_host_device_scalarIfEENS9_IdEENS9_IS5_EEb
                                        ; -- End function
	.set _ZN9rocsparseL12csrilu0_hashILj256ELj64ELj8E21rocsparse_complex_numIfEEEviPKiS4_PT2_S4_PiS4_S7_S7_d21rocsparse_index_base_imNS_24const_host_device_scalarIfEENS9_IdEENS9_IS5_EEb.num_vgpr, 31
	.set _ZN9rocsparseL12csrilu0_hashILj256ELj64ELj8E21rocsparse_complex_numIfEEEviPKiS4_PT2_S4_PiS4_S7_S7_d21rocsparse_index_base_imNS_24const_host_device_scalarIfEENS9_IdEENS9_IS5_EEb.num_agpr, 0
	.set _ZN9rocsparseL12csrilu0_hashILj256ELj64ELj8E21rocsparse_complex_numIfEEEviPKiS4_PT2_S4_PiS4_S7_S7_d21rocsparse_index_base_imNS_24const_host_device_scalarIfEENS9_IdEENS9_IS5_EEb.numbered_sgpr, 62
	.set _ZN9rocsparseL12csrilu0_hashILj256ELj64ELj8E21rocsparse_complex_numIfEEEviPKiS4_PT2_S4_PiS4_S7_S7_d21rocsparse_index_base_imNS_24const_host_device_scalarIfEENS9_IdEENS9_IS5_EEb.num_named_barrier, 0
	.set _ZN9rocsparseL12csrilu0_hashILj256ELj64ELj8E21rocsparse_complex_numIfEEEviPKiS4_PT2_S4_PiS4_S7_S7_d21rocsparse_index_base_imNS_24const_host_device_scalarIfEENS9_IdEENS9_IS5_EEb.private_seg_size, 0
	.set _ZN9rocsparseL12csrilu0_hashILj256ELj64ELj8E21rocsparse_complex_numIfEEEviPKiS4_PT2_S4_PiS4_S7_S7_d21rocsparse_index_base_imNS_24const_host_device_scalarIfEENS9_IdEENS9_IS5_EEb.uses_vcc, 1
	.set _ZN9rocsparseL12csrilu0_hashILj256ELj64ELj8E21rocsparse_complex_numIfEEEviPKiS4_PT2_S4_PiS4_S7_S7_d21rocsparse_index_base_imNS_24const_host_device_scalarIfEENS9_IdEENS9_IS5_EEb.uses_flat_scratch, 0
	.set _ZN9rocsparseL12csrilu0_hashILj256ELj64ELj8E21rocsparse_complex_numIfEEEviPKiS4_PT2_S4_PiS4_S7_S7_d21rocsparse_index_base_imNS_24const_host_device_scalarIfEENS9_IdEENS9_IS5_EEb.has_dyn_sized_stack, 0
	.set _ZN9rocsparseL12csrilu0_hashILj256ELj64ELj8E21rocsparse_complex_numIfEEEviPKiS4_PT2_S4_PiS4_S7_S7_d21rocsparse_index_base_imNS_24const_host_device_scalarIfEENS9_IdEENS9_IS5_EEb.has_recursion, 0
	.set _ZN9rocsparseL12csrilu0_hashILj256ELj64ELj8E21rocsparse_complex_numIfEEEviPKiS4_PT2_S4_PiS4_S7_S7_d21rocsparse_index_base_imNS_24const_host_device_scalarIfEENS9_IdEENS9_IS5_EEb.has_indirect_call, 0
	.section	.AMDGPU.csdata,"",@progbits
; Kernel info:
; codeLenInByte = 3164
; TotalNumSgprs: 66
; NumVgprs: 31
; ScratchSize: 0
; MemoryBound: 0
; FloatMode: 240
; IeeeMode: 1
; LDSByteSize: 16384 bytes/workgroup (compile time only)
; SGPRBlocks: 12
; VGPRBlocks: 12
; NumSGPRsForWavesPerEU: 102
; NumVGPRsForWavesPerEU: 49
; Occupancy: 4
; WaveLimiterHint : 1
; COMPUTE_PGM_RSRC2:SCRATCH_EN: 0
; COMPUTE_PGM_RSRC2:USER_SGPR: 6
; COMPUTE_PGM_RSRC2:TRAP_HANDLER: 0
; COMPUTE_PGM_RSRC2:TGID_X_EN: 1
; COMPUTE_PGM_RSRC2:TGID_Y_EN: 0
; COMPUTE_PGM_RSRC2:TGID_Z_EN: 0
; COMPUTE_PGM_RSRC2:TIDIG_COMP_CNT: 0
	.section	.text._ZN9rocsparseL12csrilu0_hashILj256ELj64ELj16E21rocsparse_complex_numIfEEEviPKiS4_PT2_S4_PiS4_S7_S7_d21rocsparse_index_base_imNS_24const_host_device_scalarIfEENS9_IdEENS9_IS5_EEb,"axG",@progbits,_ZN9rocsparseL12csrilu0_hashILj256ELj64ELj16E21rocsparse_complex_numIfEEEviPKiS4_PT2_S4_PiS4_S7_S7_d21rocsparse_index_base_imNS_24const_host_device_scalarIfEENS9_IdEENS9_IS5_EEb,comdat
	.globl	_ZN9rocsparseL12csrilu0_hashILj256ELj64ELj16E21rocsparse_complex_numIfEEEviPKiS4_PT2_S4_PiS4_S7_S7_d21rocsparse_index_base_imNS_24const_host_device_scalarIfEENS9_IdEENS9_IS5_EEb ; -- Begin function _ZN9rocsparseL12csrilu0_hashILj256ELj64ELj16E21rocsparse_complex_numIfEEEviPKiS4_PT2_S4_PiS4_S7_S7_d21rocsparse_index_base_imNS_24const_host_device_scalarIfEENS9_IdEENS9_IS5_EEb
	.p2align	8
	.type	_ZN9rocsparseL12csrilu0_hashILj256ELj64ELj16E21rocsparse_complex_numIfEEEviPKiS4_PT2_S4_PiS4_S7_S7_d21rocsparse_index_base_imNS_24const_host_device_scalarIfEENS9_IdEENS9_IS5_EEb,@function
_ZN9rocsparseL12csrilu0_hashILj256ELj64ELj16E21rocsparse_complex_numIfEEEviPKiS4_PT2_S4_PiS4_S7_S7_d21rocsparse_index_base_imNS_24const_host_device_scalarIfEENS9_IdEENS9_IS5_EEb: ; @_ZN9rocsparseL12csrilu0_hashILj256ELj64ELj16E21rocsparse_complex_numIfEEEviPKiS4_PT2_S4_PiS4_S7_S7_d21rocsparse_index_base_imNS_24const_host_device_scalarIfEENS9_IdEENS9_IS5_EEb
; %bb.0:
	s_load_dword s0, s[4:5], 0x78
	s_load_dwordx2 s[34:35], s[4:5], 0x50
	s_load_dwordx8 s[24:31], s[4:5], 0x58
	s_waitcnt lgkmcnt(0)
	s_bitcmp1_b32 s0, 0
	s_cselect_b64 s[2:3], -1, 0
	s_cmp_eq_u32 s35, 0
	s_cselect_b64 s[12:13], -1, 0
	s_cmp_lg_u32 s35, 0
	s_cselect_b64 s[8:9], -1, 0
	s_or_b64 s[14:15], s[12:13], s[2:3]
	s_xor_b64 s[0:1], s[14:15], -1
	s_and_b64 s[10:11], s[12:13], exec
	s_cselect_b32 s11, 0, s29
	s_cselect_b32 s10, 0, s28
	s_and_b64 vcc, exec, s[14:15]
	s_cbranch_vccnz .LBB37_2
; %bb.1:
	s_load_dword s7, s[26:27], 0x0
	s_mov_b64 s[10:11], s[28:29]
	s_waitcnt lgkmcnt(0)
	v_mov_b32_e32 v18, s7
	v_mov_b32_e32 v3, s10
	s_andn2_b64 vcc, exec, s[0:1]
	v_mov_b32_e32 v4, s11
	s_cbranch_vccz .LBB37_3
	s_branch .LBB37_4
.LBB37_2:
	v_mov_b32_e32 v1, s26
	v_cndmask_b32_e64 v18, v1, 0, s[12:13]
	v_mov_b32_e32 v3, s10
	s_andn2_b64 vcc, exec, s[0:1]
	v_mov_b32_e32 v4, s11
	s_cbranch_vccnz .LBB37_4
.LBB37_3:
	v_mov_b32_e32 v1, s28
	v_mov_b32_e32 v2, s29
	flat_load_dwordx2 v[3:4], v[1:2]
.LBB37_4:
	v_cndmask_b32_e64 v1, 0, 1, s[8:9]
	s_mov_b32 s33, 0
	v_cmp_ne_u32_e64 s[0:1], 1, v1
	s_andn2_b64 vcc, exec, s[8:9]
	s_mov_b32 s35, 0
	s_cbranch_vccnz .LBB37_10
; %bb.5:
	s_xor_b64 s[8:9], s[2:3], -1
	v_cndmask_b32_e64 v1, 0, 1, s[8:9]
	v_cmp_ne_u32_e64 s[2:3], 1, v1
	s_andn2_b64 vcc, exec, s[8:9]
	s_mov_b32 s33, s30
	s_cbranch_vccnz .LBB37_7
; %bb.6:
	s_load_dword s33, s[30:31], 0x0
.LBB37_7:
	s_and_b64 vcc, exec, s[2:3]
	s_cbranch_vccnz .LBB37_9
; %bb.8:
	s_load_dword s31, s[30:31], 0x4
.LBB37_9:
	s_waitcnt lgkmcnt(0)
	s_mov_b32 s35, s31
.LBB37_10:
	v_and_b32_e32 v17, 63, v0
	v_lshrrev_b32_e32 v1, 6, v0
	v_lshlrev_b32_e32 v5, 12, v1
	v_lshlrev_b32_e32 v6, 2, v17
	s_movk_i32 s2, 0x4000
	v_or_b32_e32 v2, 0xffffffc0, v17
	v_or3_b32 v5, v5, v6, s2
	s_mov_b64 s[2:3], 0
	v_mov_b32_e32 v6, -1
	s_movk_i32 s7, 0x3bf
.LBB37_11:                              ; =>This Inner Loop Header: Depth=1
	v_add_u32_e32 v2, 64, v2
	v_cmp_lt_u32_e32 vcc, s7, v2
	ds_write_b32 v5, v6
	s_or_b64 s[2:3], vcc, s[2:3]
	v_add_u32_e32 v5, 0x100, v5
	s_andn2_b64 exec, exec, s[2:3]
	s_cbranch_execnz .LBB37_11
; %bb.12:
	s_or_b64 exec, exec, s[2:3]
	s_load_dword s2, s[4:5], 0x0
	s_lshl_b32 s3, s6, 2
	s_and_b32 s3, s3, 0x3fffffc
	v_or_b32_e32 v1, s3, v1
	s_waitcnt lgkmcnt(0)
	v_cmp_gt_i32_e32 vcc, s2, v1
	s_and_saveexec_b64 s[2:3], vcc
	s_cbranch_execz .LBB37_90
; %bb.13:
	s_load_dwordx16 s[8:23], s[4:5], 0x8
	v_lshlrev_b32_e32 v1, 2, v1
	v_lshlrev_b32_e32 v0, 6, v0
	v_and_b32_e32 v0, 0x3000, v0
	v_or_b32_e32 v19, 0x4000, v0
	s_waitcnt lgkmcnt(0)
	global_load_dword v5, v1, s[18:19]
	v_mov_b32_e32 v7, s9
	v_mov_b32_e32 v10, s15
	s_waitcnt vmcnt(0)
	v_ashrrev_i32_e32 v6, 31, v5
	v_lshlrev_b64 v[1:2], 2, v[5:6]
	v_add_co_u32_e32 v6, vcc, s8, v1
	v_addc_co_u32_e32 v7, vcc, v7, v2, vcc
	global_load_dwordx2 v[7:8], v[6:7], off
	v_add_co_u32_e32 v9, vcc, s14, v1
	v_addc_co_u32_e32 v10, vcc, v10, v2, vcc
	global_load_dword v6, v[9:10], off
	s_waitcnt vmcnt(1)
	v_subrev_u32_e32 v7, s34, v7
	v_subrev_u32_e32 v10, s34, v8
	v_add_u32_e32 v8, v7, v17
	v_cmp_lt_i32_e32 vcc, v8, v10
	s_and_saveexec_b64 s[2:3], vcc
	s_cbranch_execz .LBB37_36
; %bb.14:
	s_mov_b64 s[6:7], 0
	v_mov_b32_e32 v11, s11
	s_movk_i32 s56, 0x67
	v_mov_b32_e32 v12, -1
	s_branch .LBB37_16
.LBB37_15:                              ;   in Loop: Header=BB37_16 Depth=1
	s_or_b64 exec, exec, s[18:19]
	v_add_u32_e32 v8, 64, v8
	v_cmp_ge_i32_e32 vcc, v8, v10
	s_or_b64 s[6:7], vcc, s[6:7]
	s_andn2_b64 exec, exec, s[6:7]
	s_cbranch_execz .LBB37_36
.LBB37_16:                              ; =>This Loop Header: Depth=1
                                        ;     Child Loop BB37_25 Depth 2
	v_ashrrev_i32_e32 v9, 31, v8
	v_lshlrev_b64 v[13:14], 2, v[8:9]
	s_mov_b64 s[26:27], 0
	v_add_co_u32_e32 v13, vcc, s10, v13
	v_addc_co_u32_e32 v14, vcc, v11, v14, vcc
	global_load_dword v9, v[13:14], off
	v_mov_b32_e32 v13, 0x400
                                        ; implicit-def: $sgpr18_sgpr19
                                        ; implicit-def: $sgpr28_sgpr29
                                        ; implicit-def: $sgpr30_sgpr31
	s_waitcnt vmcnt(0)
	v_mul_lo_u32 v15, v9, s56
	s_branch .LBB37_25
.LBB37_17:                              ;   in Loop: Header=BB37_25 Depth=2
	s_or_b64 exec, exec, s[54:55]
	s_orn2_b64 s[50:51], s[50:51], exec
	s_orn2_b64 s[52:53], s[52:53], exec
.LBB37_18:                              ;   in Loop: Header=BB37_25 Depth=2
	s_or_b64 exec, exec, s[48:49]
	s_and_b64 s[50:51], s[50:51], exec
	s_orn2_b64 s[48:49], s[52:53], exec
.LBB37_19:                              ;   in Loop: Header=BB37_25 Depth=2
	s_or_b64 exec, exec, s[46:47]
	s_orn2_b64 s[50:51], s[50:51], exec
	s_orn2_b64 s[46:47], s[48:49], exec
.LBB37_20:                              ;   in Loop: Header=BB37_25 Depth=2
	s_or_b64 exec, exec, s[44:45]
	s_and_b64 s[48:49], s[50:51], exec
	s_orn2_b64 s[44:45], s[46:47], exec
.LBB37_21:                              ;   in Loop: Header=BB37_25 Depth=2
	s_or_b64 exec, exec, s[42:43]
	s_orn2_b64 s[42:43], s[48:49], exec
	s_orn2_b64 s[44:45], s[44:45], exec
.LBB37_22:                              ;   in Loop: Header=BB37_25 Depth=2
	s_or_b64 exec, exec, s[40:41]
	s_and_b64 s[42:43], s[42:43], exec
	s_orn2_b64 s[40:41], s[44:45], exec
.LBB37_23:                              ;   in Loop: Header=BB37_25 Depth=2
	s_or_b64 exec, exec, s[38:39]
	s_andn2_b64 s[30:31], s[30:31], exec
	s_and_b64 s[38:39], s[42:43], exec
	s_or_b64 s[30:31], s[30:31], s[38:39]
	s_andn2_b64 s[28:29], s[28:29], exec
	s_and_b64 s[38:39], s[40:41], exec
	s_or_b64 s[28:29], s[28:29], s[38:39]
.LBB37_24:                              ;   in Loop: Header=BB37_25 Depth=2
	s_or_b64 exec, exec, s[36:37]
	s_and_b64 s[36:37], exec, s[28:29]
	s_or_b64 s[26:27], s[36:37], s[26:27]
	s_andn2_b64 s[18:19], s[18:19], exec
	s_and_b64 s[36:37], s[30:31], exec
	s_or_b64 s[18:19], s[18:19], s[36:37]
	s_andn2_b64 exec, exec, s[26:27]
	s_cbranch_execz .LBB37_34
.LBB37_25:                              ;   Parent Loop BB37_16 Depth=1
                                        ; =>  This Inner Loop Header: Depth=2
	v_and_b32_e32 v14, 0x3ff, v15
	v_lshl_add_u32 v16, v14, 2, v19
	ds_read_b32 v20, v16
	s_or_b64 s[30:31], s[30:31], exec
	s_or_b64 s[28:29], s[28:29], exec
	s_waitcnt lgkmcnt(0)
	v_cmp_ne_u32_e32 vcc, v20, v9
	s_and_saveexec_b64 s[36:37], vcc
	s_cbranch_execz .LBB37_24
; %bb.26:                               ;   in Loop: Header=BB37_25 Depth=2
	ds_cmpst_rtn_b32 v16, v16, v12, v9
	s_mov_b64 s[40:41], -1
	s_mov_b64 s[42:43], 0
	s_waitcnt lgkmcnt(0)
	v_cmp_ne_u32_e32 vcc, -1, v16
	s_and_saveexec_b64 s[38:39], vcc
	s_cbranch_execz .LBB37_23
; %bb.27:                               ;   in Loop: Header=BB37_25 Depth=2
	v_add_u32_e32 v14, 1, v15
	v_and_b32_e32 v14, 0x3ff, v14
	v_lshl_add_u32 v16, v14, 2, v19
	ds_read_b32 v20, v16
	s_mov_b64 s[44:45], -1
	s_mov_b64 s[42:43], -1
	s_waitcnt lgkmcnt(0)
	v_cmp_ne_u32_e32 vcc, v20, v9
	s_and_saveexec_b64 s[40:41], vcc
	s_cbranch_execz .LBB37_22
; %bb.28:                               ;   in Loop: Header=BB37_25 Depth=2
	ds_cmpst_rtn_b32 v16, v16, v12, v9
	s_mov_b64 s[48:49], 0
	s_waitcnt lgkmcnt(0)
	v_cmp_ne_u32_e32 vcc, -1, v16
	s_and_saveexec_b64 s[42:43], vcc
	s_cbranch_execz .LBB37_21
; %bb.29:                               ;   in Loop: Header=BB37_25 Depth=2
	v_add_u32_e32 v14, 2, v15
	v_and_b32_e32 v14, 0x3ff, v14
	v_lshl_add_u32 v16, v14, 2, v19
	ds_read_b32 v20, v16
	s_mov_b64 s[46:47], -1
	s_mov_b64 s[50:51], -1
	s_waitcnt lgkmcnt(0)
	v_cmp_ne_u32_e32 vcc, v20, v9
	s_and_saveexec_b64 s[44:45], vcc
	s_cbranch_execz .LBB37_20
; %bb.30:                               ;   in Loop: Header=BB37_25 Depth=2
	ds_cmpst_rtn_b32 v16, v16, v12, v9
	s_mov_b64 s[48:49], -1
	s_mov_b64 s[50:51], 0
	s_waitcnt lgkmcnt(0)
	v_cmp_ne_u32_e32 vcc, -1, v16
	s_and_saveexec_b64 s[46:47], vcc
	s_cbranch_execz .LBB37_19
; %bb.31:                               ;   in Loop: Header=BB37_25 Depth=2
	v_add_u32_e32 v14, 3, v15
	v_and_b32_e32 v14, 0x3ff, v14
	v_lshl_add_u32 v16, v14, 2, v19
	ds_read_b32 v15, v16
	s_mov_b64 s[52:53], -1
	s_mov_b64 s[50:51], -1
	s_waitcnt lgkmcnt(0)
	v_cmp_ne_u32_e32 vcc, v15, v9
                                        ; implicit-def: $vgpr15
	s_and_saveexec_b64 s[48:49], vcc
	s_cbranch_execz .LBB37_18
; %bb.32:                               ;   in Loop: Header=BB37_25 Depth=2
	ds_cmpst_rtn_b32 v15, v16, v12, v9
	s_mov_b64 s[50:51], 0
	s_waitcnt lgkmcnt(0)
	v_cmp_ne_u32_e32 vcc, -1, v15
                                        ; implicit-def: $vgpr15
	s_and_saveexec_b64 s[54:55], vcc
	s_cbranch_execz .LBB37_17
; %bb.33:                               ;   in Loop: Header=BB37_25 Depth=2
	v_add_u32_e32 v13, -4, v13
	v_cmp_eq_u32_e32 vcc, 0, v13
	s_mov_b64 s[50:51], exec
	v_add_u32_e32 v15, 1, v14
	s_orn2_b64 s[52:53], vcc, exec
	s_branch .LBB37_17
.LBB37_34:                              ;   in Loop: Header=BB37_16 Depth=1
	s_or_b64 exec, exec, s[26:27]
	s_xor_b64 s[18:19], s[18:19], -1
	s_and_saveexec_b64 s[26:27], s[18:19]
	s_xor_b64 s[18:19], exec, s[26:27]
	s_cbranch_execz .LBB37_15
; %bb.35:                               ;   in Loop: Header=BB37_16 Depth=1
	v_lshl_add_u32 v9, v14, 2, v0
	ds_write_b32 v9, v8
	s_branch .LBB37_15
.LBB37_36:
	s_or_b64 exec, exec, s[2:3]
	s_waitcnt vmcnt(0)
	v_cmp_lt_i32_e32 vcc, v7, v6
	s_waitcnt lgkmcnt(0)
	s_and_saveexec_b64 s[6:7], vcc
	s_cbranch_execz .LBB37_66
; %bb.37:
	v_add_u32_e32 v20, 1, v17
	s_mov_b64 s[18:19], 0
	v_mov_b32_e32 v21, s11
	v_mov_b32_e32 v22, s13
	v_mov_b32_e32 v23, s9
	v_mov_b32_e32 v24, s15
	v_mov_b32_e32 v25, s17
	s_movk_i32 s9, 0x67
	s_branch .LBB37_40
.LBB37_38:                              ;   in Loop: Header=BB37_40 Depth=1
	s_or_b64 exec, exec, s[26:27]
	v_add_u32_e32 v7, 1, v7
	v_cmp_ge_i32_e32 vcc, v7, v6
	s_orn2_b64 s[26:27], vcc, exec
.LBB37_39:                              ;   in Loop: Header=BB37_40 Depth=1
	s_or_b64 exec, exec, s[2:3]
	s_and_b64 s[2:3], exec, s[26:27]
	s_or_b64 s[18:19], s[2:3], s[18:19]
	s_andn2_b64 exec, exec, s[18:19]
	s_cbranch_execz .LBB37_66
.LBB37_40:                              ; =>This Loop Header: Depth=1
                                        ;     Child Loop BB37_41 Depth 2
                                        ;     Child Loop BB37_46 Depth 2
                                        ;       Child Loop BB37_55 Depth 3
	v_ashrrev_i32_e32 v8, 31, v7
	v_lshlrev_b64 v[9:10], 2, v[7:8]
	s_mov_b64 s[2:3], 0
	v_add_co_u32_e32 v9, vcc, s10, v9
	v_addc_co_u32_e32 v10, vcc, v21, v10, vcc
	global_load_dword v11, v[9:10], off
	v_lshlrev_b64 v[8:9], 3, v[7:8]
	v_add_co_u32_e32 v12, vcc, s12, v8
	v_addc_co_u32_e32 v13, vcc, v22, v9, vcc
	global_load_dwordx2 v[9:10], v[12:13], off
	s_waitcnt vmcnt(1)
	v_subrev_u32_e32 v14, s34, v11
	v_ashrrev_i32_e32 v15, 31, v14
	v_lshlrev_b64 v[14:15], 2, v[14:15]
	v_add_co_u32_e32 v26, vcc, s8, v14
	v_addc_co_u32_e32 v27, vcc, v23, v15, vcc
	v_add_co_u32_e32 v28, vcc, s14, v14
	v_addc_co_u32_e32 v29, vcc, v24, v15, vcc
	global_load_dword v8, v[26:27], off offset:4
	global_load_dword v11, v[28:29], off
	v_add_co_u32_e32 v14, vcc, s16, v14
	v_addc_co_u32_e32 v15, vcc, v25, v15, vcc
.LBB37_41:                              ;   Parent Loop BB37_40 Depth=1
                                        ; =>  This Inner Loop Header: Depth=2
	global_load_dword v16, v[14:15], off glc
	s_waitcnt vmcnt(0)
	v_cmp_ne_u32_e32 vcc, 0, v16
	s_or_b64 s[2:3], vcc, s[2:3]
	s_andn2_b64 exec, exec, s[2:3]
	s_cbranch_execnz .LBB37_41
; %bb.42:                               ;   in Loop: Header=BB37_40 Depth=1
	s_or_b64 exec, exec, s[2:3]
	v_subrev_u32_e32 v26, s34, v8
	v_add_u32_e32 v8, -1, v26
	v_cmp_eq_u32_e32 vcc, -1, v11
	v_cndmask_b32_e32 v14, v11, v8, vcc
	v_ashrrev_i32_e32 v15, 31, v14
	v_lshlrev_b64 v[15:16], 3, v[14:15]
	buffer_wbinvl1_vol
	v_add_co_u32_e32 v15, vcc, s12, v15
	v_addc_co_u32_e32 v16, vcc, v22, v16, vcc
	global_load_dwordx2 v[15:16], v[15:16], off
	s_mov_b64 s[26:27], -1
	s_waitcnt vmcnt(0)
	v_cmp_neq_f32_e32 vcc, 0, v15
	v_cmp_neq_f32_e64 s[2:3], 0, v16
	s_or_b64 s[28:29], vcc, s[2:3]
	s_and_saveexec_b64 s[2:3], s[28:29]
	s_cbranch_execz .LBB37_39
; %bb.43:                               ;   in Loop: Header=BB37_40 Depth=1
	v_mul_f32_e32 v11, v16, v16
	v_fmac_f32_e32 v11, v15, v15
	v_div_scale_f32 v8, s[26:27], v11, v11, 1.0
	v_div_scale_f32 v27, vcc, 1.0, v11, 1.0
	v_rcp_f32_e32 v28, v8
	v_fma_f32 v29, -v8, v28, 1.0
	v_fmac_f32_e32 v28, v29, v28
	v_mul_f32_e32 v29, v27, v28
	v_fma_f32 v30, -v8, v29, v27
	v_fmac_f32_e32 v29, v30, v28
	v_fma_f32 v8, -v8, v29, v27
	v_div_fmas_f32 v27, v8, v28, v29
	v_mul_f32_e32 v28, v10, v16
	v_mul_f32_e64 v16, v16, -v9
	v_add_u32_e32 v8, v20, v14
	v_fmac_f32_e32 v28, v9, v15
	v_fmac_f32_e32 v16, v10, v15
	v_cmp_lt_i32_e32 vcc, v8, v26
	v_div_fixup_f32 v9, v27, v11, 1.0
	v_mul_f32_e32 v10, v28, v9
	v_mul_f32_e32 v11, v16, v9
	global_store_dwordx2 v[12:13], v[10:11], off
	s_and_saveexec_b64 s[26:27], vcc
	s_cbranch_execz .LBB37_38
; %bb.44:                               ;   in Loop: Header=BB37_40 Depth=1
	s_mov_b64 s[28:29], 0
	s_branch .LBB37_46
.LBB37_45:                              ;   in Loop: Header=BB37_46 Depth=2
	s_or_b64 exec, exec, s[30:31]
	v_add_u32_e32 v8, 64, v8
	v_cmp_ge_i32_e32 vcc, v8, v26
	s_or_b64 s[28:29], vcc, s[28:29]
	s_andn2_b64 exec, exec, s[28:29]
	s_cbranch_execz .LBB37_38
.LBB37_46:                              ;   Parent Loop BB37_40 Depth=1
                                        ; =>  This Loop Header: Depth=2
                                        ;       Child Loop BB37_55 Depth 3
	v_ashrrev_i32_e32 v9, 31, v8
	v_lshlrev_b64 v[12:13], 2, v[8:9]
	s_mov_b64 s[36:37], 0
	v_add_co_u32_e32 v12, vcc, s10, v12
	v_addc_co_u32_e32 v13, vcc, v21, v13, vcc
	global_load_dword v12, v[12:13], off
	v_mov_b32_e32 v13, 0x400
                                        ; implicit-def: $sgpr30_sgpr31
                                        ; implicit-def: $sgpr38_sgpr39
                                        ; implicit-def: $sgpr40_sgpr41
	s_waitcnt vmcnt(0)
	v_mul_lo_u32 v15, v12, s9
	s_branch .LBB37_55
.LBB37_47:                              ;   in Loop: Header=BB37_55 Depth=3
	s_or_b64 exec, exec, s[60:61]
	s_orn2_b64 s[56:57], s[56:57], exec
	s_orn2_b64 s[58:59], s[58:59], exec
.LBB37_48:                              ;   in Loop: Header=BB37_55 Depth=3
	s_or_b64 exec, exec, s[54:55]
	s_and_b64 s[56:57], s[56:57], exec
	s_orn2_b64 s[54:55], s[58:59], exec
.LBB37_49:                              ;   in Loop: Header=BB37_55 Depth=3
	s_or_b64 exec, exec, s[52:53]
	s_orn2_b64 s[56:57], s[56:57], exec
	s_orn2_b64 s[52:53], s[54:55], exec
.LBB37_50:                              ;   in Loop: Header=BB37_55 Depth=3
	s_or_b64 exec, exec, s[50:51]
	s_and_b64 s[54:55], s[56:57], exec
	s_orn2_b64 s[50:51], s[52:53], exec
.LBB37_51:                              ;   in Loop: Header=BB37_55 Depth=3
	s_or_b64 exec, exec, s[48:49]
	s_orn2_b64 s[48:49], s[54:55], exec
	s_orn2_b64 s[50:51], s[50:51], exec
.LBB37_52:                              ;   in Loop: Header=BB37_55 Depth=3
	s_or_b64 exec, exec, s[46:47]
	s_and_b64 s[48:49], s[48:49], exec
	s_orn2_b64 s[46:47], s[50:51], exec
.LBB37_53:                              ;   in Loop: Header=BB37_55 Depth=3
	s_or_b64 exec, exec, s[44:45]
	s_andn2_b64 s[40:41], s[40:41], exec
	s_and_b64 s[44:45], s[48:49], exec
	s_or_b64 s[40:41], s[40:41], s[44:45]
	s_andn2_b64 s[38:39], s[38:39], exec
	s_and_b64 s[44:45], s[46:47], exec
	s_or_b64 s[38:39], s[38:39], s[44:45]
.LBB37_54:                              ;   in Loop: Header=BB37_55 Depth=3
	s_or_b64 exec, exec, s[42:43]
	s_and_b64 s[42:43], exec, s[38:39]
	s_or_b64 s[36:37], s[42:43], s[36:37]
	s_andn2_b64 s[30:31], s[30:31], exec
	s_and_b64 s[42:43], s[40:41], exec
	s_or_b64 s[30:31], s[30:31], s[42:43]
	s_andn2_b64 exec, exec, s[36:37]
	s_cbranch_execz .LBB37_64
.LBB37_55:                              ;   Parent Loop BB37_40 Depth=1
                                        ;     Parent Loop BB37_46 Depth=2
                                        ; =>    This Inner Loop Header: Depth=3
	v_and_b32_e32 v14, 0x3ff, v15
	v_lshl_add_u32 v16, v14, 2, v19
	ds_read_b32 v16, v16
	s_or_b64 s[40:41], s[40:41], exec
	s_or_b64 s[38:39], s[38:39], exec
	s_waitcnt lgkmcnt(0)
	v_cmp_ne_u32_e32 vcc, -1, v16
	s_and_saveexec_b64 s[42:43], vcc
	s_cbranch_execz .LBB37_54
; %bb.56:                               ;   in Loop: Header=BB37_55 Depth=3
	v_cmp_ne_u32_e32 vcc, v16, v12
	s_mov_b64 s[46:47], -1
	s_mov_b64 s[48:49], 0
	s_and_saveexec_b64 s[44:45], vcc
	s_cbranch_execz .LBB37_53
; %bb.57:                               ;   in Loop: Header=BB37_55 Depth=3
	v_add_u32_e32 v14, 1, v15
	v_and_b32_e32 v14, 0x3ff, v14
	v_lshl_add_u32 v16, v14, 2, v19
	ds_read_b32 v16, v16
	s_mov_b64 s[50:51], -1
	s_mov_b64 s[48:49], -1
	s_waitcnt lgkmcnt(0)
	v_cmp_ne_u32_e32 vcc, -1, v16
	s_and_saveexec_b64 s[46:47], vcc
	s_cbranch_execz .LBB37_52
; %bb.58:                               ;   in Loop: Header=BB37_55 Depth=3
	v_cmp_ne_u32_e32 vcc, v16, v12
	s_mov_b64 s[54:55], 0
	s_and_saveexec_b64 s[48:49], vcc
	s_cbranch_execz .LBB37_51
; %bb.59:                               ;   in Loop: Header=BB37_55 Depth=3
	v_add_u32_e32 v14, 2, v15
	v_and_b32_e32 v14, 0x3ff, v14
	v_lshl_add_u32 v16, v14, 2, v19
	ds_read_b32 v16, v16
	s_mov_b64 s[52:53], -1
	s_mov_b64 s[56:57], -1
	s_waitcnt lgkmcnt(0)
	v_cmp_ne_u32_e32 vcc, -1, v16
	s_and_saveexec_b64 s[50:51], vcc
	s_cbranch_execz .LBB37_50
; %bb.60:                               ;   in Loop: Header=BB37_55 Depth=3
	v_cmp_ne_u32_e32 vcc, v16, v12
	s_mov_b64 s[54:55], -1
	s_mov_b64 s[56:57], 0
	s_and_saveexec_b64 s[52:53], vcc
	s_cbranch_execz .LBB37_49
; %bb.61:                               ;   in Loop: Header=BB37_55 Depth=3
	v_add_u32_e32 v14, 3, v15
	v_and_b32_e32 v14, 0x3ff, v14
	v_lshl_add_u32 v15, v14, 2, v19
	ds_read_b32 v16, v15
	s_mov_b64 s[58:59], -1
	s_mov_b64 s[56:57], -1
                                        ; implicit-def: $vgpr15
	s_waitcnt lgkmcnt(0)
	v_cmp_ne_u32_e32 vcc, -1, v16
	s_and_saveexec_b64 s[54:55], vcc
	s_cbranch_execz .LBB37_48
; %bb.62:                               ;   in Loop: Header=BB37_55 Depth=3
	v_cmp_ne_u32_e32 vcc, v16, v12
	s_mov_b64 s[56:57], 0
                                        ; implicit-def: $vgpr15
	s_and_saveexec_b64 s[60:61], vcc
	s_cbranch_execz .LBB37_47
; %bb.63:                               ;   in Loop: Header=BB37_55 Depth=3
	v_add_u32_e32 v13, -4, v13
	v_cmp_eq_u32_e32 vcc, 0, v13
	s_mov_b64 s[56:57], exec
	v_add_u32_e32 v15, 1, v14
	s_orn2_b64 s[58:59], vcc, exec
	s_branch .LBB37_47
.LBB37_64:                              ;   in Loop: Header=BB37_46 Depth=2
	s_or_b64 exec, exec, s[36:37]
	s_xor_b64 s[30:31], s[30:31], -1
	s_and_saveexec_b64 s[36:37], s[30:31]
	s_xor_b64 s[30:31], exec, s[36:37]
	s_cbranch_execz .LBB37_45
; %bb.65:                               ;   in Loop: Header=BB37_46 Depth=2
	v_lshl_add_u32 v12, v14, 2, v0
	ds_read_b32 v12, v12
	v_lshlrev_b64 v[14:15], 3, v[8:9]
	v_add_co_u32_e32 v14, vcc, s12, v14
	s_waitcnt lgkmcnt(0)
	v_ashrrev_i32_e32 v13, 31, v12
	v_lshlrev_b64 v[12:13], 3, v[12:13]
	v_addc_co_u32_e32 v15, vcc, v22, v15, vcc
	v_add_co_u32_e32 v12, vcc, s12, v12
	v_addc_co_u32_e32 v13, vcc, v22, v13, vcc
	global_load_dwordx2 v[27:28], v[14:15], off
	global_load_dwordx2 v[29:30], v[12:13], off
	s_waitcnt vmcnt(0)
	v_fma_f32 v14, -v10, v27, v29
	v_fma_f32 v9, -v11, v27, v30
	v_fmac_f32_e32 v14, v11, v28
	v_fma_f32 v15, -v10, v28, v9
	global_store_dwordx2 v[12:13], v[14:15], off
	s_branch .LBB37_45
.LBB37_66:
	s_or_b64 exec, exec, s[6:7]
	v_cmp_lt_i32_e32 vcc, -1, v6
	s_and_saveexec_b64 s[6:7], vcc
	s_cbranch_execz .LBB37_88
; %bb.67:
	v_mov_b32_e32 v7, 0
	v_lshlrev_b64 v[8:9], 3, v[6:7]
	v_mov_b32_e32 v0, s13
	v_add_co_u32_e32 v10, vcc, s12, v8
	v_addc_co_u32_e32 v11, vcc, v0, v9, vcc
	global_load_dwordx2 v[8:9], v[10:11], off
	s_waitcnt vmcnt(0)
	v_cmp_gt_f32_e32 vcc, 0, v8
	v_cndmask_b32_e64 v0, v8, -v8, vcc
	v_cmp_gt_f32_e32 vcc, 0, v9
	v_cndmask_b32_e64 v6, v9, -v9, vcc
	v_cmp_ngt_f32_e32 vcc, v0, v6
	s_and_saveexec_b64 s[2:3], vcc
	s_xor_b64 s[8:9], exec, s[2:3]
	s_cbranch_execz .LBB37_71
; %bb.68:
	v_cmp_neq_f32_e32 vcc, 0, v9
	s_and_saveexec_b64 s[10:11], vcc
	s_cbranch_execz .LBB37_70
; %bb.69:
	v_div_scale_f32 v7, s[2:3], v6, v6, v0
	v_div_scale_f32 v12, vcc, v0, v6, v0
	s_mov_b32 s2, 0xf800000
	v_rcp_f32_e32 v13, v7
	v_fma_f32 v14, -v7, v13, 1.0
	v_fmac_f32_e32 v13, v14, v13
	v_mul_f32_e32 v14, v12, v13
	v_fma_f32 v15, -v7, v14, v12
	v_fmac_f32_e32 v14, v15, v13
	v_fma_f32 v7, -v7, v14, v12
	v_div_fmas_f32 v7, v7, v13, v14
	v_mov_b32_e32 v12, 0x260
	v_div_fixup_f32 v0, v7, v6, v0
	v_fma_f32 v0, v0, v0, 1.0
	v_mul_f32_e32 v7, 0x4f800000, v0
	v_cmp_gt_f32_e32 vcc, s2, v0
	v_cndmask_b32_e32 v0, v0, v7, vcc
	v_sqrt_f32_e32 v7, v0
	v_add_u32_e32 v13, -1, v7
	v_add_u32_e32 v14, 1, v7
	v_fma_f32 v15, -v13, v7, v0
	v_fma_f32 v16, -v14, v7, v0
	v_cmp_ge_f32_e64 s[2:3], 0, v15
	v_cndmask_b32_e64 v7, v7, v13, s[2:3]
	v_cmp_lt_f32_e64 s[2:3], 0, v16
	v_cndmask_b32_e64 v7, v7, v14, s[2:3]
	v_mul_f32_e32 v13, 0x37800000, v7
	v_cndmask_b32_e32 v7, v7, v13, vcc
	v_cmp_class_f32_e32 vcc, v0, v12
	v_cndmask_b32_e32 v0, v7, v0, vcc
	v_mul_f32_e32 v7, v6, v0
.LBB37_70:
	s_or_b64 exec, exec, s[10:11]
                                        ; implicit-def: $vgpr0
                                        ; implicit-def: $vgpr6
.LBB37_71:
	s_andn2_saveexec_b64 s[8:9], s[8:9]
	s_cbranch_execz .LBB37_73
; %bb.72:
	v_div_scale_f32 v7, s[2:3], v0, v0, v6
	v_div_scale_f32 v12, vcc, v6, v0, v6
	s_mov_b32 s2, 0xf800000
	v_rcp_f32_e32 v13, v7
	v_fma_f32 v14, -v7, v13, 1.0
	v_fmac_f32_e32 v13, v14, v13
	v_mul_f32_e32 v14, v12, v13
	v_fma_f32 v15, -v7, v14, v12
	v_fmac_f32_e32 v14, v15, v13
	v_fma_f32 v7, -v7, v14, v12
	v_div_fmas_f32 v7, v7, v13, v14
	v_mov_b32_e32 v12, 0x260
	v_div_fixup_f32 v6, v7, v0, v6
	v_fma_f32 v6, v6, v6, 1.0
	v_mul_f32_e32 v7, 0x4f800000, v6
	v_cmp_gt_f32_e32 vcc, s2, v6
	v_cndmask_b32_e32 v6, v6, v7, vcc
	v_sqrt_f32_e32 v7, v6
	v_add_u32_e32 v13, -1, v7
	v_add_u32_e32 v14, 1, v7
	v_fma_f32 v15, -v13, v7, v6
	v_fma_f32 v16, -v14, v7, v6
	v_cmp_ge_f32_e64 s[2:3], 0, v15
	v_cndmask_b32_e64 v7, v7, v13, s[2:3]
	v_cmp_lt_f32_e64 s[2:3], 0, v16
	v_cndmask_b32_e64 v7, v7, v14, s[2:3]
	v_mul_f32_e32 v13, 0x37800000, v7
	v_cndmask_b32_e32 v7, v7, v13, vcc
	v_cmp_class_f32_e32 vcc, v6, v12
	v_cndmask_b32_e32 v6, v7, v6, vcc
	v_mul_f32_e32 v7, v0, v6
.LBB37_73:
	s_or_b64 exec, exec, s[8:9]
	v_cvt_f64_f32_e32 v[6:7], v7
	v_cmp_eq_u32_e64 s[2:3], 0, v17
	s_and_b64 vcc, exec, s[0:1]
	s_mov_b64 s[0:1], -1
	s_cbranch_vccnz .LBB37_77
; %bb.74:
	v_cvt_f64_f32_e32 v[12:13], v18
	s_cmp_eq_u64 s[24:25], 8
	s_cselect_b64 vcc, -1, 0
	v_cndmask_b32_e32 v4, v13, v4, vcc
	v_cndmask_b32_e32 v3, v12, v3, vcc
	v_cmp_ge_f64_e32 vcc, v[3:4], v[6:7]
	s_and_b64 s[8:9], s[2:3], vcc
	s_and_saveexec_b64 s[0:1], s[8:9]
	s_cbranch_execz .LBB37_76
; %bb.75:
	v_mov_b32_e32 v3, s33
	v_mov_b32_e32 v4, s35
	global_store_dwordx2 v[10:11], v[3:4], off
	s_waitcnt vmcnt(0)
	buffer_wbinvl1_vol
.LBB37_76:
	s_or_b64 exec, exec, s[0:1]
	s_mov_b64 s[0:1], 0
.LBB37_77:
	s_andn2_b64 vcc, exec, s[0:1]
	s_cbranch_vccnz .LBB37_88
; %bb.78:
	s_load_dwordx2 s[0:1], s[4:5], 0x48
	v_add_u32_e32 v0, s34, v5
	s_waitcnt lgkmcnt(0)
	v_cmp_ge_f64_e32 vcc, s[0:1], v[6:7]
	s_and_b64 s[4:5], s[2:3], vcc
	s_and_saveexec_b64 s[0:1], s[4:5]
	s_cbranch_execz .LBB37_83
; %bb.79:
	s_mov_b64 s[4:5], exec
	s_brev_b32 s8, -2
.LBB37_80:                              ; =>This Inner Loop Header: Depth=1
	s_ff1_i32_b64 s9, s[4:5]
	v_readlane_b32 s12, v0, s9
	s_lshl_b64 s[10:11], 1, s9
	s_min_i32 s8, s8, s12
	s_andn2_b64 s[4:5], s[4:5], s[10:11]
	s_cmp_lg_u64 s[4:5], 0
	s_cbranch_scc1 .LBB37_80
; %bb.81:
	v_mbcnt_lo_u32_b32 v3, exec_lo, 0
	v_mbcnt_hi_u32_b32 v3, exec_hi, v3
	v_cmp_eq_u32_e32 vcc, 0, v3
	s_and_saveexec_b64 s[4:5], vcc
	s_xor_b64 s[4:5], exec, s[4:5]
	s_cbranch_execz .LBB37_83
; %bb.82:
	v_mov_b32_e32 v3, 0
	v_mov_b32_e32 v4, s8
	global_atomic_smin v3, v4, s[22:23]
.LBB37_83:
	s_or_b64 exec, exec, s[0:1]
	v_cmp_eq_f32_e32 vcc, 0, v8
	v_cmp_eq_f32_e64 s[0:1], 0, v9
	s_and_b64 s[0:1], vcc, s[0:1]
	s_and_b64 s[0:1], s[2:3], s[0:1]
	s_and_b64 exec, exec, s[0:1]
	s_cbranch_execz .LBB37_88
; %bb.84:
	s_mov_b64 s[0:1], exec
	s_brev_b32 s2, -2
.LBB37_85:                              ; =>This Inner Loop Header: Depth=1
	s_ff1_i32_b64 s3, s[0:1]
	v_readlane_b32 s8, v0, s3
	s_lshl_b64 s[4:5], 1, s3
	s_min_i32 s2, s2, s8
	s_andn2_b64 s[0:1], s[0:1], s[4:5]
	s_cmp_lg_u64 s[0:1], 0
	s_cbranch_scc1 .LBB37_85
; %bb.86:
	v_mbcnt_lo_u32_b32 v0, exec_lo, 0
	v_mbcnt_hi_u32_b32 v0, exec_hi, v0
	v_cmp_eq_u32_e32 vcc, 0, v0
	s_and_saveexec_b64 s[0:1], vcc
	s_xor_b64 s[0:1], exec, s[0:1]
	s_cbranch_execz .LBB37_88
; %bb.87:
	v_mov_b32_e32 v0, 0
	v_mov_b32_e32 v3, s2
	global_atomic_smin v0, v3, s[20:21]
.LBB37_88:
	s_or_b64 exec, exec, s[6:7]
	v_cmp_eq_u32_e32 vcc, 0, v17
	s_waitcnt vmcnt(0)
	buffer_wbinvl1_vol
	s_and_b64 exec, exec, vcc
	s_cbranch_execz .LBB37_90
; %bb.89:
	v_mov_b32_e32 v3, s17
	v_add_co_u32_e32 v0, vcc, s16, v1
	v_addc_co_u32_e32 v1, vcc, v3, v2, vcc
	v_mov_b32_e32 v2, 1
	global_store_dword v[0:1], v2, off
.LBB37_90:
	s_endpgm
	.section	.rodata,"a",@progbits
	.p2align	6, 0x0
	.amdhsa_kernel _ZN9rocsparseL12csrilu0_hashILj256ELj64ELj16E21rocsparse_complex_numIfEEEviPKiS4_PT2_S4_PiS4_S7_S7_d21rocsparse_index_base_imNS_24const_host_device_scalarIfEENS9_IdEENS9_IS5_EEb
		.amdhsa_group_segment_fixed_size 32768
		.amdhsa_private_segment_fixed_size 0
		.amdhsa_kernarg_size 124
		.amdhsa_user_sgpr_count 6
		.amdhsa_user_sgpr_private_segment_buffer 1
		.amdhsa_user_sgpr_dispatch_ptr 0
		.amdhsa_user_sgpr_queue_ptr 0
		.amdhsa_user_sgpr_kernarg_segment_ptr 1
		.amdhsa_user_sgpr_dispatch_id 0
		.amdhsa_user_sgpr_flat_scratch_init 0
		.amdhsa_user_sgpr_private_segment_size 0
		.amdhsa_uses_dynamic_stack 0
		.amdhsa_system_sgpr_private_segment_wavefront_offset 0
		.amdhsa_system_sgpr_workgroup_id_x 1
		.amdhsa_system_sgpr_workgroup_id_y 0
		.amdhsa_system_sgpr_workgroup_id_z 0
		.amdhsa_system_sgpr_workgroup_info 0
		.amdhsa_system_vgpr_workitem_id 0
		.amdhsa_next_free_vgpr 85
		.amdhsa_next_free_sgpr 98
		.amdhsa_reserve_vcc 1
		.amdhsa_reserve_flat_scratch 0
		.amdhsa_float_round_mode_32 0
		.amdhsa_float_round_mode_16_64 0
		.amdhsa_float_denorm_mode_32 3
		.amdhsa_float_denorm_mode_16_64 3
		.amdhsa_dx10_clamp 1
		.amdhsa_ieee_mode 1
		.amdhsa_fp16_overflow 0
		.amdhsa_exception_fp_ieee_invalid_op 0
		.amdhsa_exception_fp_denorm_src 0
		.amdhsa_exception_fp_ieee_div_zero 0
		.amdhsa_exception_fp_ieee_overflow 0
		.amdhsa_exception_fp_ieee_underflow 0
		.amdhsa_exception_fp_ieee_inexact 0
		.amdhsa_exception_int_div_zero 0
	.end_amdhsa_kernel
	.section	.text._ZN9rocsparseL12csrilu0_hashILj256ELj64ELj16E21rocsparse_complex_numIfEEEviPKiS4_PT2_S4_PiS4_S7_S7_d21rocsparse_index_base_imNS_24const_host_device_scalarIfEENS9_IdEENS9_IS5_EEb,"axG",@progbits,_ZN9rocsparseL12csrilu0_hashILj256ELj64ELj16E21rocsparse_complex_numIfEEEviPKiS4_PT2_S4_PiS4_S7_S7_d21rocsparse_index_base_imNS_24const_host_device_scalarIfEENS9_IdEENS9_IS5_EEb,comdat
.Lfunc_end37:
	.size	_ZN9rocsparseL12csrilu0_hashILj256ELj64ELj16E21rocsparse_complex_numIfEEEviPKiS4_PT2_S4_PiS4_S7_S7_d21rocsparse_index_base_imNS_24const_host_device_scalarIfEENS9_IdEENS9_IS5_EEb, .Lfunc_end37-_ZN9rocsparseL12csrilu0_hashILj256ELj64ELj16E21rocsparse_complex_numIfEEEviPKiS4_PT2_S4_PiS4_S7_S7_d21rocsparse_index_base_imNS_24const_host_device_scalarIfEENS9_IdEENS9_IS5_EEb
                                        ; -- End function
	.set _ZN9rocsparseL12csrilu0_hashILj256ELj64ELj16E21rocsparse_complex_numIfEEEviPKiS4_PT2_S4_PiS4_S7_S7_d21rocsparse_index_base_imNS_24const_host_device_scalarIfEENS9_IdEENS9_IS5_EEb.num_vgpr, 31
	.set _ZN9rocsparseL12csrilu0_hashILj256ELj64ELj16E21rocsparse_complex_numIfEEEviPKiS4_PT2_S4_PiS4_S7_S7_d21rocsparse_index_base_imNS_24const_host_device_scalarIfEENS9_IdEENS9_IS5_EEb.num_agpr, 0
	.set _ZN9rocsparseL12csrilu0_hashILj256ELj64ELj16E21rocsparse_complex_numIfEEEviPKiS4_PT2_S4_PiS4_S7_S7_d21rocsparse_index_base_imNS_24const_host_device_scalarIfEENS9_IdEENS9_IS5_EEb.numbered_sgpr, 62
	.set _ZN9rocsparseL12csrilu0_hashILj256ELj64ELj16E21rocsparse_complex_numIfEEEviPKiS4_PT2_S4_PiS4_S7_S7_d21rocsparse_index_base_imNS_24const_host_device_scalarIfEENS9_IdEENS9_IS5_EEb.num_named_barrier, 0
	.set _ZN9rocsparseL12csrilu0_hashILj256ELj64ELj16E21rocsparse_complex_numIfEEEviPKiS4_PT2_S4_PiS4_S7_S7_d21rocsparse_index_base_imNS_24const_host_device_scalarIfEENS9_IdEENS9_IS5_EEb.private_seg_size, 0
	.set _ZN9rocsparseL12csrilu0_hashILj256ELj64ELj16E21rocsparse_complex_numIfEEEviPKiS4_PT2_S4_PiS4_S7_S7_d21rocsparse_index_base_imNS_24const_host_device_scalarIfEENS9_IdEENS9_IS5_EEb.uses_vcc, 1
	.set _ZN9rocsparseL12csrilu0_hashILj256ELj64ELj16E21rocsparse_complex_numIfEEEviPKiS4_PT2_S4_PiS4_S7_S7_d21rocsparse_index_base_imNS_24const_host_device_scalarIfEENS9_IdEENS9_IS5_EEb.uses_flat_scratch, 0
	.set _ZN9rocsparseL12csrilu0_hashILj256ELj64ELj16E21rocsparse_complex_numIfEEEviPKiS4_PT2_S4_PiS4_S7_S7_d21rocsparse_index_base_imNS_24const_host_device_scalarIfEENS9_IdEENS9_IS5_EEb.has_dyn_sized_stack, 0
	.set _ZN9rocsparseL12csrilu0_hashILj256ELj64ELj16E21rocsparse_complex_numIfEEEviPKiS4_PT2_S4_PiS4_S7_S7_d21rocsparse_index_base_imNS_24const_host_device_scalarIfEENS9_IdEENS9_IS5_EEb.has_recursion, 0
	.set _ZN9rocsparseL12csrilu0_hashILj256ELj64ELj16E21rocsparse_complex_numIfEEEviPKiS4_PT2_S4_PiS4_S7_S7_d21rocsparse_index_base_imNS_24const_host_device_scalarIfEENS9_IdEENS9_IS5_EEb.has_indirect_call, 0
	.section	.AMDGPU.csdata,"",@progbits
; Kernel info:
; codeLenInByte = 3164
; TotalNumSgprs: 66
; NumVgprs: 31
; ScratchSize: 0
; MemoryBound: 0
; FloatMode: 240
; IeeeMode: 1
; LDSByteSize: 32768 bytes/workgroup (compile time only)
; SGPRBlocks: 12
; VGPRBlocks: 21
; NumSGPRsForWavesPerEU: 102
; NumVGPRsForWavesPerEU: 85
; Occupancy: 2
; WaveLimiterHint : 1
; COMPUTE_PGM_RSRC2:SCRATCH_EN: 0
; COMPUTE_PGM_RSRC2:USER_SGPR: 6
; COMPUTE_PGM_RSRC2:TRAP_HANDLER: 0
; COMPUTE_PGM_RSRC2:TGID_X_EN: 1
; COMPUTE_PGM_RSRC2:TGID_Y_EN: 0
; COMPUTE_PGM_RSRC2:TGID_Z_EN: 0
; COMPUTE_PGM_RSRC2:TIDIG_COMP_CNT: 0
	.section	.text._ZN9rocsparseL17csrilu0_binsearchILj256ELj64ELb0E21rocsparse_complex_numIfEEEviPKiS4_PT2_S4_PiS4_S7_S7_d21rocsparse_index_base_imNS_24const_host_device_scalarIfEENS9_IdEENS9_IS5_EEb,"axG",@progbits,_ZN9rocsparseL17csrilu0_binsearchILj256ELj64ELb0E21rocsparse_complex_numIfEEEviPKiS4_PT2_S4_PiS4_S7_S7_d21rocsparse_index_base_imNS_24const_host_device_scalarIfEENS9_IdEENS9_IS5_EEb,comdat
	.globl	_ZN9rocsparseL17csrilu0_binsearchILj256ELj64ELb0E21rocsparse_complex_numIfEEEviPKiS4_PT2_S4_PiS4_S7_S7_d21rocsparse_index_base_imNS_24const_host_device_scalarIfEENS9_IdEENS9_IS5_EEb ; -- Begin function _ZN9rocsparseL17csrilu0_binsearchILj256ELj64ELb0E21rocsparse_complex_numIfEEEviPKiS4_PT2_S4_PiS4_S7_S7_d21rocsparse_index_base_imNS_24const_host_device_scalarIfEENS9_IdEENS9_IS5_EEb
	.p2align	8
	.type	_ZN9rocsparseL17csrilu0_binsearchILj256ELj64ELb0E21rocsparse_complex_numIfEEEviPKiS4_PT2_S4_PiS4_S7_S7_d21rocsparse_index_base_imNS_24const_host_device_scalarIfEENS9_IdEENS9_IS5_EEb,@function
_ZN9rocsparseL17csrilu0_binsearchILj256ELj64ELb0E21rocsparse_complex_numIfEEEviPKiS4_PT2_S4_PiS4_S7_S7_d21rocsparse_index_base_imNS_24const_host_device_scalarIfEENS9_IdEENS9_IS5_EEb: ; @_ZN9rocsparseL17csrilu0_binsearchILj256ELj64ELb0E21rocsparse_complex_numIfEEEviPKiS4_PT2_S4_PiS4_S7_S7_d21rocsparse_index_base_imNS_24const_host_device_scalarIfEENS9_IdEENS9_IS5_EEb
; %bb.0:
	s_load_dword s0, s[4:5], 0x78
	s_load_dwordx2 s[34:35], s[4:5], 0x50
	s_load_dwordx8 s[24:31], s[4:5], 0x58
	s_waitcnt lgkmcnt(0)
	s_bitcmp1_b32 s0, 0
	s_cselect_b64 s[2:3], -1, 0
	s_cmp_eq_u32 s35, 0
	s_cselect_b64 s[12:13], -1, 0
	s_cmp_lg_u32 s35, 0
	s_cselect_b64 s[8:9], -1, 0
	s_or_b64 s[14:15], s[12:13], s[2:3]
	s_xor_b64 s[0:1], s[14:15], -1
	s_and_b64 s[10:11], s[12:13], exec
	s_cselect_b32 s11, 0, s29
	s_cselect_b32 s10, 0, s28
	s_and_b64 vcc, exec, s[14:15]
	s_cbranch_vccnz .LBB38_2
; %bb.1:
	s_load_dword s7, s[26:27], 0x0
	s_mov_b64 s[10:11], s[28:29]
	s_waitcnt lgkmcnt(0)
	v_mov_b32_e32 v17, s7
	v_mov_b32_e32 v3, s10
	s_andn2_b64 vcc, exec, s[0:1]
	v_mov_b32_e32 v4, s11
	s_cbranch_vccz .LBB38_3
	s_branch .LBB38_4
.LBB38_2:
	v_mov_b32_e32 v1, s26
	v_cndmask_b32_e64 v17, v1, 0, s[12:13]
	v_mov_b32_e32 v3, s10
	s_andn2_b64 vcc, exec, s[0:1]
	v_mov_b32_e32 v4, s11
	s_cbranch_vccnz .LBB38_4
.LBB38_3:
	v_mov_b32_e32 v1, s28
	v_mov_b32_e32 v2, s29
	flat_load_dwordx2 v[3:4], v[1:2]
.LBB38_4:
	v_cndmask_b32_e64 v1, 0, 1, s[8:9]
	s_mov_b32 s33, 0
	v_cmp_ne_u32_e64 s[0:1], 1, v1
	s_andn2_b64 vcc, exec, s[8:9]
	s_mov_b32 s35, 0
	s_cbranch_vccnz .LBB38_10
; %bb.5:
	s_xor_b64 s[8:9], s[2:3], -1
	v_cndmask_b32_e64 v1, 0, 1, s[8:9]
	v_cmp_ne_u32_e64 s[2:3], 1, v1
	s_andn2_b64 vcc, exec, s[8:9]
	s_mov_b32 s33, s30
	s_cbranch_vccnz .LBB38_7
; %bb.6:
	s_load_dword s33, s[30:31], 0x0
.LBB38_7:
	s_and_b64 vcc, exec, s[2:3]
	s_cbranch_vccnz .LBB38_9
; %bb.8:
	s_load_dword s31, s[30:31], 0x4
.LBB38_9:
	s_waitcnt lgkmcnt(0)
	s_mov_b32 s35, s31
.LBB38_10:
	s_load_dword s2, s[4:5], 0x0
	s_lshl_b32 s3, s6, 2
	v_lshrrev_b32_e32 v1, 6, v0
	s_and_b32 s3, s3, 0x3fffffc
	v_or_b32_e32 v1, s3, v1
	s_waitcnt lgkmcnt(0)
	v_cmp_gt_i32_e32 vcc, s2, v1
	s_and_saveexec_b64 s[2:3], vcc
	s_cbranch_execz .LBB38_52
; %bb.11:
	s_load_dwordx16 s[8:23], s[4:5], 0x8
	v_lshlrev_b32_e32 v1, 2, v1
	v_and_b32_e32 v0, 63, v0
	s_waitcnt lgkmcnt(0)
	global_load_dword v5, v1, s[18:19]
	v_mov_b32_e32 v7, s15
	v_mov_b32_e32 v9, s9
	s_waitcnt vmcnt(0)
	v_ashrrev_i32_e32 v6, 31, v5
	v_lshlrev_b64 v[1:2], 2, v[5:6]
	v_add_co_u32_e32 v10, vcc, s14, v1
	v_addc_co_u32_e32 v11, vcc, v7, v2, vcc
	v_add_co_u32_e32 v8, vcc, s8, v1
	v_addc_co_u32_e32 v9, vcc, v9, v2, vcc
	global_load_dword v7, v[8:9], off
	global_load_dword v6, v[10:11], off
	s_waitcnt vmcnt(1)
	v_subrev_u32_e32 v7, s34, v7
	s_waitcnt vmcnt(0)
	v_cmp_lt_i32_e32 vcc, v7, v6
	s_and_saveexec_b64 s[6:7], vcc
	s_cbranch_execz .LBB38_28
; %bb.12:
	global_load_dword v8, v[8:9], off offset:4
	v_add_u32_e32 v18, 1, v0
	s_mov_b64 s[18:19], 0
	v_mov_b32_e32 v19, s11
	v_mov_b32_e32 v20, s13
	;; [unrolled: 1-line block ×5, first 2 shown]
	s_waitcnt vmcnt(0)
	v_xad_u32 v23, s34, -1, v8
	s_branch .LBB38_15
.LBB38_13:                              ;   in Loop: Header=BB38_15 Depth=1
	s_or_b64 exec, exec, s[26:27]
	v_cmp_ge_i32_e32 vcc, v7, v6
	s_orn2_b64 s[26:27], vcc, exec
.LBB38_14:                              ;   in Loop: Header=BB38_15 Depth=1
	s_or_b64 exec, exec, s[2:3]
	s_and_b64 s[2:3], exec, s[26:27]
	s_or_b64 s[18:19], s[2:3], s[18:19]
	s_andn2_b64 exec, exec, s[18:19]
	s_cbranch_execz .LBB38_28
.LBB38_15:                              ; =>This Loop Header: Depth=1
                                        ;     Child Loop BB38_17 Depth 2
                                        ;     Child Loop BB38_22 Depth 2
                                        ;       Child Loop BB38_24 Depth 3
	v_ashrrev_i32_e32 v8, 31, v7
	v_lshlrev_b64 v[9:10], 2, v[7:8]
	v_add_co_u32_e32 v9, vcc, s10, v9
	v_addc_co_u32_e32 v10, vcc, v19, v10, vcc
	global_load_dword v11, v[9:10], off
	v_lshlrev_b64 v[8:9], 3, v[7:8]
	v_add_co_u32_e32 v12, vcc, s12, v8
	v_addc_co_u32_e32 v13, vcc, v20, v9, vcc
	global_load_dwordx2 v[9:10], v[12:13], off
	s_waitcnt vmcnt(1)
	v_subrev_u32_e32 v14, s34, v11
	v_ashrrev_i32_e32 v15, 31, v14
	v_lshlrev_b64 v[14:15], 2, v[14:15]
	v_add_co_u32_e32 v25, vcc, s8, v14
	v_addc_co_u32_e32 v26, vcc, v21, v15, vcc
	v_add_co_u32_e32 v27, vcc, s14, v14
	v_addc_co_u32_e32 v28, vcc, v22, v15, vcc
	;; [unrolled: 2-line block ×3, first 2 shown]
	global_load_dword v11, v[25:26], off offset:4
	global_load_dword v8, v[27:28], off
	global_load_dword v16, v[14:15], off glc
	s_waitcnt vmcnt(0)
	v_cmp_eq_u32_e32 vcc, 0, v16
	s_and_saveexec_b64 s[2:3], vcc
	s_cbranch_execz .LBB38_18
; %bb.16:                               ;   in Loop: Header=BB38_15 Depth=1
	s_mov_b64 s[26:27], 0
.LBB38_17:                              ;   Parent Loop BB38_15 Depth=1
                                        ; =>  This Inner Loop Header: Depth=2
	global_load_dword v16, v[14:15], off glc
	s_waitcnt vmcnt(0)
	v_cmp_ne_u32_e32 vcc, 0, v16
	s_or_b64 s[26:27], vcc, s[26:27]
	s_andn2_b64 exec, exec, s[26:27]
	s_cbranch_execnz .LBB38_17
.LBB38_18:                              ;   in Loop: Header=BB38_15 Depth=1
	s_or_b64 exec, exec, s[2:3]
	v_subrev_u32_e32 v25, s34, v11
	v_add_u32_e32 v11, -1, v25
	v_cmp_eq_u32_e32 vcc, -1, v8
	v_cndmask_b32_e32 v14, v8, v11, vcc
	v_ashrrev_i32_e32 v15, 31, v14
	v_lshlrev_b64 v[15:16], 3, v[14:15]
	v_mov_b32_e32 v8, s13
	v_add_co_u32_e32 v15, vcc, s12, v15
	v_addc_co_u32_e32 v16, vcc, v8, v16, vcc
	buffer_wbinvl1_vol
	global_load_dwordx2 v[15:16], v[15:16], off
	s_mov_b64 s[26:27], -1
	s_waitcnt vmcnt(0)
	v_cmp_neq_f32_e32 vcc, 0, v15
	v_cmp_neq_f32_e64 s[2:3], 0, v16
	s_or_b64 s[2:3], vcc, s[2:3]
	s_and_saveexec_b64 s[28:29], s[2:3]
	s_xor_b64 s[2:3], exec, s[28:29]
	s_cbranch_execz .LBB38_14
; %bb.19:                               ;   in Loop: Header=BB38_15 Depth=1
	v_mul_f32_e32 v11, v16, v16
	v_fmac_f32_e32 v11, v15, v15
	v_div_scale_f32 v8, s[26:27], v11, v11, 1.0
	v_div_scale_f32 v26, vcc, 1.0, v11, 1.0
	v_add_u32_e32 v7, 1, v7
	v_rcp_f32_e32 v27, v8
	v_fma_f32 v28, -v8, v27, 1.0
	v_fmac_f32_e32 v27, v28, v27
	v_mul_f32_e32 v28, v26, v27
	v_fma_f32 v29, -v8, v28, v26
	v_fmac_f32_e32 v28, v29, v27
	v_fma_f32 v8, -v8, v28, v26
	v_div_fmas_f32 v26, v8, v27, v28
	v_mul_f32_e32 v27, v10, v16
	v_mul_f32_e64 v16, v16, -v9
	v_add_u32_e32 v8, v18, v14
	v_fmac_f32_e32 v27, v9, v15
	v_fmac_f32_e32 v16, v10, v15
	v_cmp_lt_i32_e32 vcc, v8, v25
	v_div_fixup_f32 v9, v26, v11, 1.0
	v_mul_f32_e32 v10, v27, v9
	v_mul_f32_e32 v11, v16, v9
	global_store_dwordx2 v[12:13], v[10:11], off
	s_and_saveexec_b64 s[26:27], vcc
	s_cbranch_execz .LBB38_13
; %bb.20:                               ;   in Loop: Header=BB38_15 Depth=1
	s_mov_b64 s[28:29], 0
	v_mov_b32_e32 v12, v7
	s_branch .LBB38_22
.LBB38_21:                              ;   in Loop: Header=BB38_22 Depth=2
	s_or_b64 exec, exec, s[30:31]
	v_add_u32_e32 v8, 64, v8
	v_cmp_ge_i32_e32 vcc, v8, v25
	s_or_b64 s[28:29], vcc, s[28:29]
	s_andn2_b64 exec, exec, s[28:29]
	s_cbranch_execz .LBB38_13
.LBB38_22:                              ;   Parent Loop BB38_15 Depth=1
                                        ; =>  This Loop Header: Depth=2
                                        ;       Child Loop BB38_24 Depth 3
	v_ashrrev_i32_e32 v9, 31, v8
	v_lshlrev_b64 v[13:14], 2, v[8:9]
	v_add_u32_e32 v15, v12, v23
	v_mov_b32_e32 v16, s11
	v_add_co_u32_e32 v26, vcc, s10, v13
	v_ashrrev_i32_e32 v13, 1, v15
	v_addc_co_u32_e32 v27, vcc, v16, v14, vcc
	v_ashrrev_i32_e32 v14, 31, v13
	v_lshlrev_b64 v[14:15], 2, v[13:14]
	v_add_co_u32_e32 v28, vcc, s10, v14
	v_addc_co_u32_e32 v29, vcc, v16, v15, vcc
	global_load_dword v15, v[26:27], off
	global_load_dword v14, v[28:29], off
	v_cmp_lt_i32_e32 vcc, v12, v23
	s_and_saveexec_b64 s[30:31], vcc
	s_cbranch_execz .LBB38_26
; %bb.23:                               ;   in Loop: Header=BB38_22 Depth=2
	s_mov_b64 s[36:37], 0
	v_mov_b32_e32 v16, v23
.LBB38_24:                              ;   Parent Loop BB38_15 Depth=1
                                        ;     Parent Loop BB38_22 Depth=2
                                        ; =>    This Inner Loop Header: Depth=3
	v_add_u32_e32 v26, 1, v13
	s_waitcnt vmcnt(0)
	v_cmp_lt_i32_e32 vcc, v14, v15
	v_cndmask_b32_e32 v16, v13, v16, vcc
	v_cndmask_b32_e32 v12, v12, v26, vcc
	v_add_u32_e32 v13, v16, v12
	v_ashrrev_i32_e32 v13, 1, v13
	v_ashrrev_i32_e32 v14, 31, v13
	v_lshlrev_b64 v[26:27], 2, v[13:14]
	v_mov_b32_e32 v14, s11
	v_add_co_u32_e32 v26, vcc, s10, v26
	v_addc_co_u32_e32 v27, vcc, v14, v27, vcc
	global_load_dword v14, v[26:27], off
	v_cmp_ge_i32_e32 vcc, v12, v16
	s_or_b64 s[36:37], vcc, s[36:37]
	s_andn2_b64 exec, exec, s[36:37]
	s_cbranch_execnz .LBB38_24
; %bb.25:                               ;   in Loop: Header=BB38_22 Depth=2
	s_or_b64 exec, exec, s[36:37]
.LBB38_26:                              ;   in Loop: Header=BB38_22 Depth=2
	s_or_b64 exec, exec, s[30:31]
	s_waitcnt vmcnt(0)
	v_cmp_eq_u32_e32 vcc, v14, v15
	s_and_saveexec_b64 s[30:31], vcc
	s_cbranch_execz .LBB38_21
; %bb.27:                               ;   in Loop: Header=BB38_22 Depth=2
	v_lshlrev_b64 v[13:14], 3, v[8:9]
	v_mov_b32_e32 v9, s13
	v_add_co_u32_e32 v15, vcc, s12, v13
	v_ashrrev_i32_e32 v13, 31, v12
	v_addc_co_u32_e32 v16, vcc, v9, v14, vcc
	v_lshlrev_b64 v[13:14], 3, v[12:13]
	v_add_co_u32_e32 v13, vcc, s12, v13
	v_addc_co_u32_e32 v14, vcc, v9, v14, vcc
	global_load_dwordx2 v[26:27], v[15:16], off
	global_load_dwordx2 v[28:29], v[13:14], off
	s_waitcnt vmcnt(0)
	v_fma_f32 v15, -v10, v26, v28
	v_fma_f32 v9, -v11, v26, v29
	v_fmac_f32_e32 v15, v11, v27
	v_fma_f32 v16, -v10, v27, v9
	global_store_dwordx2 v[13:14], v[15:16], off
	s_branch .LBB38_21
.LBB38_28:
	s_or_b64 exec, exec, s[6:7]
	v_cmp_lt_i32_e32 vcc, -1, v6
	s_and_saveexec_b64 s[6:7], vcc
	s_cbranch_execz .LBB38_50
; %bb.29:
	v_mov_b32_e32 v7, 0
	v_lshlrev_b64 v[8:9], 3, v[6:7]
	v_mov_b32_e32 v6, s13
	v_add_co_u32_e32 v10, vcc, s12, v8
	v_addc_co_u32_e32 v11, vcc, v6, v9, vcc
	global_load_dwordx2 v[8:9], v[10:11], off
	s_waitcnt vmcnt(0)
	v_cmp_gt_f32_e32 vcc, 0, v8
	v_cndmask_b32_e64 v6, v8, -v8, vcc
	v_cmp_gt_f32_e32 vcc, 0, v9
	v_cndmask_b32_e64 v12, v9, -v9, vcc
	v_cmp_ngt_f32_e32 vcc, v6, v12
	s_and_saveexec_b64 s[2:3], vcc
	s_xor_b64 s[8:9], exec, s[2:3]
	s_cbranch_execz .LBB38_33
; %bb.30:
	v_cmp_neq_f32_e32 vcc, 0, v9
	s_and_saveexec_b64 s[10:11], vcc
	s_cbranch_execz .LBB38_32
; %bb.31:
	v_div_scale_f32 v7, s[2:3], v12, v12, v6
	v_div_scale_f32 v13, vcc, v6, v12, v6
	s_mov_b32 s2, 0xf800000
	v_rcp_f32_e32 v14, v7
	v_fma_f32 v15, -v7, v14, 1.0
	v_fmac_f32_e32 v14, v15, v14
	v_mul_f32_e32 v15, v13, v14
	v_fma_f32 v16, -v7, v15, v13
	v_fmac_f32_e32 v15, v16, v14
	v_fma_f32 v7, -v7, v15, v13
	v_div_fmas_f32 v7, v7, v14, v15
	v_mov_b32_e32 v13, 0x260
	v_div_fixup_f32 v6, v7, v12, v6
	v_fma_f32 v6, v6, v6, 1.0
	v_mul_f32_e32 v7, 0x4f800000, v6
	v_cmp_gt_f32_e32 vcc, s2, v6
	v_cndmask_b32_e32 v6, v6, v7, vcc
	v_sqrt_f32_e32 v7, v6
	v_add_u32_e32 v14, -1, v7
	v_add_u32_e32 v15, 1, v7
	v_fma_f32 v16, -v14, v7, v6
	v_fma_f32 v18, -v15, v7, v6
	v_cmp_ge_f32_e64 s[2:3], 0, v16
	v_cndmask_b32_e64 v7, v7, v14, s[2:3]
	v_cmp_lt_f32_e64 s[2:3], 0, v18
	v_cndmask_b32_e64 v7, v7, v15, s[2:3]
	v_mul_f32_e32 v14, 0x37800000, v7
	v_cndmask_b32_e32 v7, v7, v14, vcc
	v_cmp_class_f32_e32 vcc, v6, v13
	v_cndmask_b32_e32 v6, v7, v6, vcc
	v_mul_f32_e32 v7, v12, v6
.LBB38_32:
	s_or_b64 exec, exec, s[10:11]
                                        ; implicit-def: $vgpr6
                                        ; implicit-def: $vgpr12
.LBB38_33:
	s_andn2_saveexec_b64 s[8:9], s[8:9]
	s_cbranch_execz .LBB38_35
; %bb.34:
	v_div_scale_f32 v7, s[2:3], v6, v6, v12
	v_div_scale_f32 v13, vcc, v12, v6, v12
	s_mov_b32 s2, 0xf800000
	v_rcp_f32_e32 v14, v7
	v_fma_f32 v15, -v7, v14, 1.0
	v_fmac_f32_e32 v14, v15, v14
	v_mul_f32_e32 v15, v13, v14
	v_fma_f32 v16, -v7, v15, v13
	v_fmac_f32_e32 v15, v16, v14
	v_fma_f32 v7, -v7, v15, v13
	v_div_fmas_f32 v7, v7, v14, v15
	v_mov_b32_e32 v13, 0x260
	v_div_fixup_f32 v7, v7, v6, v12
	v_fma_f32 v7, v7, v7, 1.0
	v_mul_f32_e32 v12, 0x4f800000, v7
	v_cmp_gt_f32_e32 vcc, s2, v7
	v_cndmask_b32_e32 v7, v7, v12, vcc
	v_sqrt_f32_e32 v12, v7
	v_add_u32_e32 v14, -1, v12
	v_add_u32_e32 v15, 1, v12
	v_fma_f32 v16, -v14, v12, v7
	v_fma_f32 v18, -v15, v12, v7
	v_cmp_ge_f32_e64 s[2:3], 0, v16
	v_cndmask_b32_e64 v12, v12, v14, s[2:3]
	v_cmp_lt_f32_e64 s[2:3], 0, v18
	v_cndmask_b32_e64 v12, v12, v15, s[2:3]
	v_mul_f32_e32 v14, 0x37800000, v12
	v_cndmask_b32_e32 v12, v12, v14, vcc
	v_cmp_class_f32_e32 vcc, v7, v13
	v_cndmask_b32_e32 v7, v12, v7, vcc
	v_mul_f32_e32 v7, v6, v7
.LBB38_35:
	s_or_b64 exec, exec, s[8:9]
	v_cvt_f64_f32_e32 v[6:7], v7
	v_cmp_eq_u32_e64 s[2:3], 0, v0
	s_and_b64 vcc, exec, s[0:1]
	s_mov_b64 s[0:1], -1
	s_cbranch_vccnz .LBB38_39
; %bb.36:
	v_cvt_f64_f32_e32 v[12:13], v17
	s_cmp_eq_u64 s[24:25], 8
	s_cselect_b64 vcc, -1, 0
	v_cndmask_b32_e32 v4, v13, v4, vcc
	v_cndmask_b32_e32 v3, v12, v3, vcc
	v_cmp_ge_f64_e32 vcc, v[3:4], v[6:7]
	s_and_b64 s[8:9], s[2:3], vcc
	s_and_saveexec_b64 s[0:1], s[8:9]
	s_cbranch_execz .LBB38_38
; %bb.37:
	v_mov_b32_e32 v3, s33
	v_mov_b32_e32 v4, s35
	global_store_dwordx2 v[10:11], v[3:4], off
.LBB38_38:
	s_or_b64 exec, exec, s[0:1]
	s_mov_b64 s[0:1], 0
.LBB38_39:
	s_andn2_b64 vcc, exec, s[0:1]
	s_cbranch_vccnz .LBB38_50
; %bb.40:
	s_load_dwordx2 s[0:1], s[4:5], 0x48
	v_add_u32_e32 v3, s34, v5
	s_waitcnt lgkmcnt(0)
	v_cmp_ge_f64_e32 vcc, s[0:1], v[6:7]
	s_and_b64 s[4:5], s[2:3], vcc
	s_and_saveexec_b64 s[0:1], s[4:5]
	s_cbranch_execz .LBB38_45
; %bb.41:
	s_mov_b64 s[4:5], exec
	s_brev_b32 s8, -2
.LBB38_42:                              ; =>This Inner Loop Header: Depth=1
	s_ff1_i32_b64 s9, s[4:5]
	v_readlane_b32 s12, v3, s9
	s_lshl_b64 s[10:11], 1, s9
	s_min_i32 s8, s8, s12
	s_andn2_b64 s[4:5], s[4:5], s[10:11]
	s_cmp_lg_u64 s[4:5], 0
	s_cbranch_scc1 .LBB38_42
; %bb.43:
	v_mbcnt_lo_u32_b32 v4, exec_lo, 0
	v_mbcnt_hi_u32_b32 v4, exec_hi, v4
	v_cmp_eq_u32_e32 vcc, 0, v4
	s_and_saveexec_b64 s[4:5], vcc
	s_xor_b64 s[4:5], exec, s[4:5]
	s_cbranch_execz .LBB38_45
; %bb.44:
	v_mov_b32_e32 v4, 0
	v_mov_b32_e32 v5, s8
	global_atomic_smin v4, v5, s[22:23]
.LBB38_45:
	s_or_b64 exec, exec, s[0:1]
	v_cmp_eq_f32_e32 vcc, 0, v8
	v_cmp_eq_f32_e64 s[0:1], 0, v9
	s_and_b64 s[0:1], vcc, s[0:1]
	s_and_b64 s[0:1], s[2:3], s[0:1]
	s_and_b64 exec, exec, s[0:1]
	s_cbranch_execz .LBB38_50
; %bb.46:
	s_mov_b64 s[0:1], exec
	s_brev_b32 s2, -2
.LBB38_47:                              ; =>This Inner Loop Header: Depth=1
	s_ff1_i32_b64 s3, s[0:1]
	v_readlane_b32 s8, v3, s3
	s_lshl_b64 s[4:5], 1, s3
	s_min_i32 s2, s2, s8
	s_andn2_b64 s[0:1], s[0:1], s[4:5]
	s_cmp_lg_u64 s[0:1], 0
	s_cbranch_scc1 .LBB38_47
; %bb.48:
	v_mbcnt_lo_u32_b32 v3, exec_lo, 0
	v_mbcnt_hi_u32_b32 v3, exec_hi, v3
	v_cmp_eq_u32_e32 vcc, 0, v3
	s_and_saveexec_b64 s[0:1], vcc
	s_xor_b64 s[0:1], exec, s[0:1]
	s_cbranch_execz .LBB38_50
; %bb.49:
	v_mov_b32_e32 v3, 0
	v_mov_b32_e32 v4, s2
	global_atomic_smin v3, v4, s[20:21]
.LBB38_50:
	s_or_b64 exec, exec, s[6:7]
	v_cmp_eq_u32_e32 vcc, 0, v0
	s_waitcnt vmcnt(0)
	buffer_wbinvl1_vol
	s_and_b64 exec, exec, vcc
	s_cbranch_execz .LBB38_52
; %bb.51:
	v_mov_b32_e32 v3, s17
	v_add_co_u32_e32 v0, vcc, s16, v1
	v_addc_co_u32_e32 v1, vcc, v3, v2, vcc
	v_mov_b32_e32 v2, 1
	global_store_dword v[0:1], v2, off
.LBB38_52:
	s_endpgm
	.section	.rodata,"a",@progbits
	.p2align	6, 0x0
	.amdhsa_kernel _ZN9rocsparseL17csrilu0_binsearchILj256ELj64ELb0E21rocsparse_complex_numIfEEEviPKiS4_PT2_S4_PiS4_S7_S7_d21rocsparse_index_base_imNS_24const_host_device_scalarIfEENS9_IdEENS9_IS5_EEb
		.amdhsa_group_segment_fixed_size 0
		.amdhsa_private_segment_fixed_size 0
		.amdhsa_kernarg_size 124
		.amdhsa_user_sgpr_count 6
		.amdhsa_user_sgpr_private_segment_buffer 1
		.amdhsa_user_sgpr_dispatch_ptr 0
		.amdhsa_user_sgpr_queue_ptr 0
		.amdhsa_user_sgpr_kernarg_segment_ptr 1
		.amdhsa_user_sgpr_dispatch_id 0
		.amdhsa_user_sgpr_flat_scratch_init 0
		.amdhsa_user_sgpr_private_segment_size 0
		.amdhsa_uses_dynamic_stack 0
		.amdhsa_system_sgpr_private_segment_wavefront_offset 0
		.amdhsa_system_sgpr_workgroup_id_x 1
		.amdhsa_system_sgpr_workgroup_id_y 0
		.amdhsa_system_sgpr_workgroup_id_z 0
		.amdhsa_system_sgpr_workgroup_info 0
		.amdhsa_system_vgpr_workitem_id 0
		.amdhsa_next_free_vgpr 30
		.amdhsa_next_free_sgpr 38
		.amdhsa_reserve_vcc 1
		.amdhsa_reserve_flat_scratch 0
		.amdhsa_float_round_mode_32 0
		.amdhsa_float_round_mode_16_64 0
		.amdhsa_float_denorm_mode_32 3
		.amdhsa_float_denorm_mode_16_64 3
		.amdhsa_dx10_clamp 1
		.amdhsa_ieee_mode 1
		.amdhsa_fp16_overflow 0
		.amdhsa_exception_fp_ieee_invalid_op 0
		.amdhsa_exception_fp_denorm_src 0
		.amdhsa_exception_fp_ieee_div_zero 0
		.amdhsa_exception_fp_ieee_overflow 0
		.amdhsa_exception_fp_ieee_underflow 0
		.amdhsa_exception_fp_ieee_inexact 0
		.amdhsa_exception_int_div_zero 0
	.end_amdhsa_kernel
	.section	.text._ZN9rocsparseL17csrilu0_binsearchILj256ELj64ELb0E21rocsparse_complex_numIfEEEviPKiS4_PT2_S4_PiS4_S7_S7_d21rocsparse_index_base_imNS_24const_host_device_scalarIfEENS9_IdEENS9_IS5_EEb,"axG",@progbits,_ZN9rocsparseL17csrilu0_binsearchILj256ELj64ELb0E21rocsparse_complex_numIfEEEviPKiS4_PT2_S4_PiS4_S7_S7_d21rocsparse_index_base_imNS_24const_host_device_scalarIfEENS9_IdEENS9_IS5_EEb,comdat
.Lfunc_end38:
	.size	_ZN9rocsparseL17csrilu0_binsearchILj256ELj64ELb0E21rocsparse_complex_numIfEEEviPKiS4_PT2_S4_PiS4_S7_S7_d21rocsparse_index_base_imNS_24const_host_device_scalarIfEENS9_IdEENS9_IS5_EEb, .Lfunc_end38-_ZN9rocsparseL17csrilu0_binsearchILj256ELj64ELb0E21rocsparse_complex_numIfEEEviPKiS4_PT2_S4_PiS4_S7_S7_d21rocsparse_index_base_imNS_24const_host_device_scalarIfEENS9_IdEENS9_IS5_EEb
                                        ; -- End function
	.set _ZN9rocsparseL17csrilu0_binsearchILj256ELj64ELb0E21rocsparse_complex_numIfEEEviPKiS4_PT2_S4_PiS4_S7_S7_d21rocsparse_index_base_imNS_24const_host_device_scalarIfEENS9_IdEENS9_IS5_EEb.num_vgpr, 30
	.set _ZN9rocsparseL17csrilu0_binsearchILj256ELj64ELb0E21rocsparse_complex_numIfEEEviPKiS4_PT2_S4_PiS4_S7_S7_d21rocsparse_index_base_imNS_24const_host_device_scalarIfEENS9_IdEENS9_IS5_EEb.num_agpr, 0
	.set _ZN9rocsparseL17csrilu0_binsearchILj256ELj64ELb0E21rocsparse_complex_numIfEEEviPKiS4_PT2_S4_PiS4_S7_S7_d21rocsparse_index_base_imNS_24const_host_device_scalarIfEENS9_IdEENS9_IS5_EEb.numbered_sgpr, 38
	.set _ZN9rocsparseL17csrilu0_binsearchILj256ELj64ELb0E21rocsparse_complex_numIfEEEviPKiS4_PT2_S4_PiS4_S7_S7_d21rocsparse_index_base_imNS_24const_host_device_scalarIfEENS9_IdEENS9_IS5_EEb.num_named_barrier, 0
	.set _ZN9rocsparseL17csrilu0_binsearchILj256ELj64ELb0E21rocsparse_complex_numIfEEEviPKiS4_PT2_S4_PiS4_S7_S7_d21rocsparse_index_base_imNS_24const_host_device_scalarIfEENS9_IdEENS9_IS5_EEb.private_seg_size, 0
	.set _ZN9rocsparseL17csrilu0_binsearchILj256ELj64ELb0E21rocsparse_complex_numIfEEEviPKiS4_PT2_S4_PiS4_S7_S7_d21rocsparse_index_base_imNS_24const_host_device_scalarIfEENS9_IdEENS9_IS5_EEb.uses_vcc, 1
	.set _ZN9rocsparseL17csrilu0_binsearchILj256ELj64ELb0E21rocsparse_complex_numIfEEEviPKiS4_PT2_S4_PiS4_S7_S7_d21rocsparse_index_base_imNS_24const_host_device_scalarIfEENS9_IdEENS9_IS5_EEb.uses_flat_scratch, 0
	.set _ZN9rocsparseL17csrilu0_binsearchILj256ELj64ELb0E21rocsparse_complex_numIfEEEviPKiS4_PT2_S4_PiS4_S7_S7_d21rocsparse_index_base_imNS_24const_host_device_scalarIfEENS9_IdEENS9_IS5_EEb.has_dyn_sized_stack, 0
	.set _ZN9rocsparseL17csrilu0_binsearchILj256ELj64ELb0E21rocsparse_complex_numIfEEEviPKiS4_PT2_S4_PiS4_S7_S7_d21rocsparse_index_base_imNS_24const_host_device_scalarIfEENS9_IdEENS9_IS5_EEb.has_recursion, 0
	.set _ZN9rocsparseL17csrilu0_binsearchILj256ELj64ELb0E21rocsparse_complex_numIfEEEviPKiS4_PT2_S4_PiS4_S7_S7_d21rocsparse_index_base_imNS_24const_host_device_scalarIfEENS9_IdEENS9_IS5_EEb.has_indirect_call, 0
	.section	.AMDGPU.csdata,"",@progbits
; Kernel info:
; codeLenInByte = 2120
; TotalNumSgprs: 42
; NumVgprs: 30
; ScratchSize: 0
; MemoryBound: 0
; FloatMode: 240
; IeeeMode: 1
; LDSByteSize: 0 bytes/workgroup (compile time only)
; SGPRBlocks: 5
; VGPRBlocks: 7
; NumSGPRsForWavesPerEU: 42
; NumVGPRsForWavesPerEU: 30
; Occupancy: 8
; WaveLimiterHint : 1
; COMPUTE_PGM_RSRC2:SCRATCH_EN: 0
; COMPUTE_PGM_RSRC2:USER_SGPR: 6
; COMPUTE_PGM_RSRC2:TRAP_HANDLER: 0
; COMPUTE_PGM_RSRC2:TGID_X_EN: 1
; COMPUTE_PGM_RSRC2:TGID_Y_EN: 0
; COMPUTE_PGM_RSRC2:TGID_Z_EN: 0
; COMPUTE_PGM_RSRC2:TIDIG_COMP_CNT: 0
	.section	.text._ZN9rocsparseL17csrilu0_binsearchILj256ELj64ELb1E21rocsparse_complex_numIdEEEviPKiS4_PT2_S4_PiS4_S7_S7_d21rocsparse_index_base_imNS_24const_host_device_scalarIfEENS9_IdEENS9_IS5_EEb,"axG",@progbits,_ZN9rocsparseL17csrilu0_binsearchILj256ELj64ELb1E21rocsparse_complex_numIdEEEviPKiS4_PT2_S4_PiS4_S7_S7_d21rocsparse_index_base_imNS_24const_host_device_scalarIfEENS9_IdEENS9_IS5_EEb,comdat
	.globl	_ZN9rocsparseL17csrilu0_binsearchILj256ELj64ELb1E21rocsparse_complex_numIdEEEviPKiS4_PT2_S4_PiS4_S7_S7_d21rocsparse_index_base_imNS_24const_host_device_scalarIfEENS9_IdEENS9_IS5_EEb ; -- Begin function _ZN9rocsparseL17csrilu0_binsearchILj256ELj64ELb1E21rocsparse_complex_numIdEEEviPKiS4_PT2_S4_PiS4_S7_S7_d21rocsparse_index_base_imNS_24const_host_device_scalarIfEENS9_IdEENS9_IS5_EEb
	.p2align	8
	.type	_ZN9rocsparseL17csrilu0_binsearchILj256ELj64ELb1E21rocsparse_complex_numIdEEEviPKiS4_PT2_S4_PiS4_S7_S7_d21rocsparse_index_base_imNS_24const_host_device_scalarIfEENS9_IdEENS9_IS5_EEb,@function
_ZN9rocsparseL17csrilu0_binsearchILj256ELj64ELb1E21rocsparse_complex_numIdEEEviPKiS4_PT2_S4_PiS4_S7_S7_d21rocsparse_index_base_imNS_24const_host_device_scalarIfEENS9_IdEENS9_IS5_EEb: ; @_ZN9rocsparseL17csrilu0_binsearchILj256ELj64ELb1E21rocsparse_complex_numIdEEEviPKiS4_PT2_S4_PiS4_S7_S7_d21rocsparse_index_base_imNS_24const_host_device_scalarIfEENS9_IdEENS9_IS5_EEb
; %bb.0:
	s_add_u32 flat_scratch_lo, s6, s9
	s_load_dword s6, s[4:5], 0x80
	s_load_dwordx8 s[36:43], s[4:5], 0x58
	s_load_dwordx2 s[12:13], s[4:5], 0x78
	s_load_dwordx2 s[10:11], s[4:5], 0x50
	s_addc_u32 flat_scratch_hi, s7, 0
	s_add_u32 s0, s0, s9
	s_addc_u32 s1, s1, 0
	s_waitcnt lgkmcnt(0)
	s_bitcmp1_b32 s6, 0
	s_cselect_b64 s[14:15], -1, 0
	s_cmp_eq_u32 s11, 0
	s_cselect_b64 s[20:21], -1, 0
	s_cmp_lg_u32 s11, 0
	s_cselect_b64 s[16:17], -1, 0
	s_or_b64 s[22:23], s[20:21], s[14:15]
	s_xor_b64 s[6:7], s[22:23], -1
	v_mov_b32_e32 v1, s43
	s_and_b64 s[18:19], s[20:21], exec
	buffer_store_dword v1, off, s[0:3], 0 offset:4
	v_mov_b32_e32 v1, s42
	s_cselect_b32 s19, 0, s41
	s_cselect_b32 s18, 0, s40
	s_and_b64 vcc, exec, s[22:23]
	buffer_store_dword v1, off, s[0:3], 0
	s_cbranch_vccnz .LBB39_2
; %bb.1:
	s_load_dword s9, s[38:39], 0x0
	s_mov_b64 s[18:19], s[40:41]
	s_waitcnt lgkmcnt(0)
	v_mov_b32_e32 v24, s9
	v_mov_b32_e32 v15, s18
	s_andn2_b64 vcc, exec, s[6:7]
	v_mov_b32_e32 v16, s19
	s_cbranch_vccz .LBB39_3
	s_branch .LBB39_4
.LBB39_2:
	v_mov_b32_e32 v1, s38
	v_cndmask_b32_e64 v24, v1, 0, s[20:21]
	v_mov_b32_e32 v15, s18
	s_andn2_b64 vcc, exec, s[6:7]
	v_mov_b32_e32 v16, s19
	s_cbranch_vccnz .LBB39_4
.LBB39_3:
	v_mov_b32_e32 v1, s40
	v_mov_b32_e32 v2, s41
	flat_load_dwordx2 v[15:16], v[1:2]
.LBB39_4:
	v_cndmask_b32_e64 v3, 0, 1, s[16:17]
	v_mov_b32_e32 v1, 0
	v_cmp_ne_u32_e64 s[6:7], 1, v3
	v_mov_b32_e32 v3, 0
	v_mov_b32_e32 v2, 0
	s_andn2_b64 vcc, exec, s[16:17]
	v_mov_b32_e32 v4, 0
	s_cbranch_vccnz .LBB39_7
; %bb.5:
	s_xor_b64 s[18:19], s[14:15], -1
	s_mov_b64 s[16:17], src_private_base
	s_and_b64 s[14:15], s[14:15], exec
	s_cselect_b32 s9, s17, s43
	s_cselect_b32 s11, 0, s42
	v_mov_b32_e32 v1, s11
	v_mov_b32_e32 v2, s9
	flat_load_dwordx2 v[1:2], v[1:2]
	v_mov_b32_e32 v3, s12
	s_andn2_b64 vcc, exec, s[18:19]
	v_mov_b32_e32 v4, s13
	s_cbranch_vccnz .LBB39_7
; %bb.6:
	v_mov_b32_e32 v3, s42
	v_mov_b32_e32 v4, s43
	flat_load_dwordx2 v[3:4], v[3:4] offset:8
.LBB39_7:
	s_load_dword s9, s[4:5], 0x0
	s_lshl_b32 s8, s8, 2
	v_lshrrev_b32_e32 v5, 6, v0
	s_and_b32 s8, s8, 0x3fffffc
	v_or_b32_e32 v5, s8, v5
	s_waitcnt lgkmcnt(0)
	v_cmp_gt_i32_e32 vcc, s9, v5
	s_and_saveexec_b64 s[8:9], vcc
	s_cbranch_execz .LBB39_51
; %bb.8:
	s_load_dwordx16 s[12:27], s[4:5], 0x8
	v_lshlrev_b32_e32 v5, 2, v5
	v_and_b32_e32 v0, 63, v0
	s_waitcnt lgkmcnt(0)
	global_load_dword v17, v5, s[22:23]
	v_mov_b32_e32 v5, s19
	v_mov_b32_e32 v6, s13
	s_waitcnt vmcnt(0)
	v_ashrrev_i32_e32 v18, 31, v17
	v_lshlrev_b64 v[13:14], 2, v[17:18]
	v_add_co_u32_e32 v7, vcc, s18, v13
	v_addc_co_u32_e32 v8, vcc, v5, v14, vcc
	v_add_co_u32_e32 v5, vcc, s12, v13
	v_addc_co_u32_e32 v6, vcc, v6, v14, vcc
	global_load_dword v9, v[5:6], off
	global_load_dword v18, v[7:8], off
	s_waitcnt vmcnt(1)
	v_subrev_u32_e32 v19, s10, v9
	s_waitcnt vmcnt(0)
	v_cmp_lt_i32_e32 vcc, v19, v18
	s_and_saveexec_b64 s[22:23], vcc
	s_cbranch_execz .LBB39_27
; %bb.9:
	global_load_dword v5, v[5:6], off offset:4
	v_add_u32_e32 v25, 1, v0
	s_mov_b64 s[28:29], 0
	v_mov_b32_e32 v26, s15
	v_mov_b32_e32 v27, s17
	;; [unrolled: 1-line block ×5, first 2 shown]
	s_waitcnt vmcnt(0)
	v_xad_u32 v30, s10, -1, v5
	s_branch .LBB39_12
.LBB39_10:                              ;   in Loop: Header=BB39_12 Depth=1
	s_or_b64 exec, exec, s[30:31]
	v_cmp_ge_i32_e32 vcc, v19, v18
	s_orn2_b64 s[30:31], vcc, exec
.LBB39_11:                              ;   in Loop: Header=BB39_12 Depth=1
	s_or_b64 exec, exec, s[8:9]
	s_and_b64 s[8:9], exec, s[30:31]
	s_or_b64 s[28:29], s[8:9], s[28:29]
	s_andn2_b64 exec, exec, s[28:29]
	s_cbranch_execz .LBB39_27
.LBB39_12:                              ; =>This Loop Header: Depth=1
                                        ;     Child Loop BB39_15 Depth 2
                                        ;       Child Loop BB39_16 Depth 3
                                        ;     Child Loop BB39_21 Depth 2
                                        ;       Child Loop BB39_23 Depth 3
	v_ashrrev_i32_e32 v20, 31, v19
	v_lshlrev_b64 v[5:6], 2, v[19:20]
	v_add_co_u32_e32 v5, vcc, s14, v5
	v_addc_co_u32_e32 v6, vcc, v26, v6, vcc
	global_load_dword v9, v[5:6], off
	v_lshlrev_b64 v[5:6], 4, v[19:20]
	v_add_co_u32_e32 v20, vcc, s16, v5
	v_addc_co_u32_e32 v21, vcc, v27, v6, vcc
	global_load_dwordx4 v[5:8], v[20:21], off
	s_waitcnt vmcnt(1)
	v_subrev_u32_e32 v9, s10, v9
	v_ashrrev_i32_e32 v10, 31, v9
	v_lshlrev_b64 v[9:10], 2, v[9:10]
	v_add_co_u32_e32 v22, vcc, s12, v9
	v_addc_co_u32_e32 v23, vcc, v28, v10, vcc
	v_add_co_u32_e32 v32, vcc, s18, v9
	v_addc_co_u32_e32 v33, vcc, v29, v10, vcc
	;; [unrolled: 2-line block ×3, first 2 shown]
	global_load_dword v12, v[22:23], off offset:4
	global_load_dword v11, v[32:33], off
	global_load_dword v34, v[9:10], off glc
	s_waitcnt vmcnt(0)
	v_cmp_eq_u32_e32 vcc, 0, v34
	s_and_saveexec_b64 s[8:9], vcc
	s_cbranch_execz .LBB39_17
; %bb.13:                               ;   in Loop: Header=BB39_12 Depth=1
	s_mov_b32 s11, 0
	s_mov_b64 s[30:31], 0
	s_branch .LBB39_15
.LBB39_14:                              ;   in Loop: Header=BB39_15 Depth=2
	global_load_dword v22, v[9:10], off glc
	s_cmpk_lt_u32 s11, 0xf43
	s_cselect_b64 s[34:35], -1, 0
	s_cmp_lg_u64 s[34:35], 0
	s_addc_u32 s11, s11, 0
	s_waitcnt vmcnt(0)
	v_cmp_ne_u32_e32 vcc, 0, v22
	s_or_b64 s[30:31], vcc, s[30:31]
	s_andn2_b64 exec, exec, s[30:31]
	s_cbranch_execz .LBB39_17
.LBB39_15:                              ;   Parent Loop BB39_12 Depth=1
                                        ; =>  This Loop Header: Depth=2
                                        ;       Child Loop BB39_16 Depth 3
	s_cmp_eq_u32 s11, 0
	s_mov_b32 s13, s11
	s_cbranch_scc1 .LBB39_14
.LBB39_16:                              ;   Parent Loop BB39_12 Depth=1
                                        ;     Parent Loop BB39_15 Depth=2
                                        ; =>    This Inner Loop Header: Depth=3
	s_add_i32 s13, s13, -1
	s_cmp_eq_u32 s13, 0
	s_sleep 1
	s_cbranch_scc0 .LBB39_16
	s_branch .LBB39_14
.LBB39_17:                              ;   in Loop: Header=BB39_12 Depth=1
	s_or_b64 exec, exec, s[8:9]
	v_subrev_u32_e32 v32, s10, v12
	v_add_u32_e32 v9, -1, v32
	v_cmp_eq_u32_e32 vcc, -1, v11
	v_cndmask_b32_e32 v22, v11, v9, vcc
	v_ashrrev_i32_e32 v23, 31, v22
	v_lshlrev_b64 v[9:10], 4, v[22:23]
	v_mov_b32_e32 v11, s17
	v_add_co_u32_e32 v9, vcc, s16, v9
	v_addc_co_u32_e32 v10, vcc, v11, v10, vcc
	buffer_wbinvl1_vol
	global_load_dwordx4 v[9:12], v[9:10], off
	s_mov_b64 s[30:31], -1
	s_waitcnt vmcnt(0)
	v_cmp_neq_f64_e32 vcc, 0, v[9:10]
	v_cmp_neq_f64_e64 s[8:9], 0, v[11:12]
	s_or_b64 s[8:9], vcc, s[8:9]
	s_and_saveexec_b64 s[34:35], s[8:9]
	s_xor_b64 s[8:9], exec, s[34:35]
	s_cbranch_execz .LBB39_11
; %bb.18:                               ;   in Loop: Header=BB39_12 Depth=1
	v_mul_f64 v[33:34], v[11:12], v[11:12]
	v_add_u32_e32 v19, 1, v19
	v_fma_f64 v[33:34], v[9:10], v[9:10], v[33:34]
	v_div_scale_f64 v[35:36], s[30:31], v[33:34], v[33:34], 1.0
	v_rcp_f64_e32 v[37:38], v[35:36]
	v_fma_f64 v[39:40], -v[35:36], v[37:38], 1.0
	v_fma_f64 v[37:38], v[37:38], v[39:40], v[37:38]
	v_div_scale_f64 v[39:40], vcc, 1.0, v[33:34], 1.0
	v_fma_f64 v[41:42], -v[35:36], v[37:38], 1.0
	v_fma_f64 v[37:38], v[37:38], v[41:42], v[37:38]
	v_mul_f64 v[41:42], v[39:40], v[37:38]
	v_fma_f64 v[35:36], -v[35:36], v[41:42], v[39:40]
	v_div_fmas_f64 v[35:36], v[35:36], v[37:38], v[41:42]
	v_mul_f64 v[37:38], v[7:8], v[11:12]
	v_mul_f64 v[11:12], v[11:12], -v[5:6]
	v_fma_f64 v[5:6], v[5:6], v[9:10], v[37:38]
	v_fma_f64 v[7:8], v[7:8], v[9:10], v[11:12]
	v_add_u32_e32 v9, v25, v22
	v_cmp_lt_i32_e32 vcc, v9, v32
	v_div_fixup_f64 v[33:34], v[35:36], v[33:34], 1.0
	v_mul_f64 v[5:6], v[5:6], v[33:34]
	v_mul_f64 v[7:8], v[7:8], v[33:34]
	global_store_dwordx4 v[20:21], v[5:8], off
	s_and_saveexec_b64 s[30:31], vcc
	s_cbranch_execz .LBB39_10
; %bb.19:                               ;   in Loop: Header=BB39_12 Depth=1
	s_mov_b64 s[34:35], 0
	v_mov_b32_e32 v11, v19
	s_branch .LBB39_21
.LBB39_20:                              ;   in Loop: Header=BB39_21 Depth=2
	s_or_b64 exec, exec, s[38:39]
	v_add_u32_e32 v9, 64, v9
	v_cmp_ge_i32_e32 vcc, v9, v32
	s_or_b64 s[34:35], vcc, s[34:35]
	s_andn2_b64 exec, exec, s[34:35]
	s_cbranch_execz .LBB39_10
.LBB39_21:                              ;   Parent Loop BB39_12 Depth=1
                                        ; =>  This Loop Header: Depth=2
                                        ;       Child Loop BB39_23 Depth 3
	v_ashrrev_i32_e32 v10, 31, v9
	v_lshlrev_b64 v[20:21], 2, v[9:10]
	v_add_u32_e32 v12, v11, v30
	v_mov_b32_e32 v35, s15
	v_add_co_u32_e32 v22, vcc, s14, v20
	v_ashrrev_i32_e32 v20, 1, v12
	v_addc_co_u32_e32 v23, vcc, v35, v21, vcc
	v_ashrrev_i32_e32 v21, 31, v20
	v_lshlrev_b64 v[33:34], 2, v[20:21]
	v_add_co_u32_e32 v33, vcc, s14, v33
	v_addc_co_u32_e32 v34, vcc, v35, v34, vcc
	global_load_dword v12, v[22:23], off
	global_load_dword v21, v[33:34], off
	v_cmp_lt_i32_e32 vcc, v11, v30
	s_and_saveexec_b64 s[38:39], vcc
	s_cbranch_execz .LBB39_25
; %bb.22:                               ;   in Loop: Header=BB39_21 Depth=2
	s_mov_b64 s[40:41], 0
	v_mov_b32_e32 v22, v30
.LBB39_23:                              ;   Parent Loop BB39_12 Depth=1
                                        ;     Parent Loop BB39_21 Depth=2
                                        ; =>    This Inner Loop Header: Depth=3
	v_add_u32_e32 v23, 1, v20
	s_waitcnt vmcnt(0)
	v_cmp_lt_i32_e32 vcc, v21, v12
	v_cndmask_b32_e32 v22, v20, v22, vcc
	v_cndmask_b32_e32 v11, v11, v23, vcc
	v_add_u32_e32 v20, v22, v11
	v_ashrrev_i32_e32 v20, 1, v20
	v_ashrrev_i32_e32 v21, 31, v20
	v_lshlrev_b64 v[33:34], 2, v[20:21]
	v_mov_b32_e32 v21, s15
	v_add_co_u32_e32 v33, vcc, s14, v33
	v_addc_co_u32_e32 v34, vcc, v21, v34, vcc
	global_load_dword v21, v[33:34], off
	v_cmp_ge_i32_e32 vcc, v11, v22
	s_or_b64 s[40:41], vcc, s[40:41]
	s_andn2_b64 exec, exec, s[40:41]
	s_cbranch_execnz .LBB39_23
; %bb.24:                               ;   in Loop: Header=BB39_21 Depth=2
	s_or_b64 exec, exec, s[40:41]
.LBB39_25:                              ;   in Loop: Header=BB39_21 Depth=2
	s_or_b64 exec, exec, s[38:39]
	s_waitcnt vmcnt(0)
	v_cmp_eq_u32_e32 vcc, v21, v12
	s_and_saveexec_b64 s[38:39], vcc
	s_cbranch_execz .LBB39_20
; %bb.26:                               ;   in Loop: Header=BB39_21 Depth=2
	v_lshlrev_b64 v[20:21], 4, v[9:10]
	v_mov_b32_e32 v10, s17
	v_add_co_u32_e32 v37, vcc, s16, v20
	v_ashrrev_i32_e32 v12, 31, v11
	v_addc_co_u32_e32 v38, vcc, v10, v21, vcc
	v_lshlrev_b64 v[20:21], 4, v[11:12]
	v_add_co_u32_e32 v39, vcc, s16, v20
	v_addc_co_u32_e32 v40, vcc, v10, v21, vcc
	global_load_dwordx4 v[20:23], v[37:38], off
	global_load_dwordx4 v[33:36], v[39:40], off
	s_waitcnt vmcnt(0)
	v_fma_f64 v[33:34], -v[5:6], v[20:21], v[33:34]
	v_fma_f64 v[35:36], -v[7:8], v[20:21], v[35:36]
	v_fma_f64 v[20:21], v[7:8], v[22:23], v[33:34]
	v_fma_f64 v[22:23], -v[5:6], v[22:23], v[35:36]
	global_store_dwordx4 v[39:40], v[20:23], off
	s_branch .LBB39_20
.LBB39_27:
	s_or_b64 exec, exec, s[22:23]
	v_cmp_lt_i32_e32 vcc, -1, v18
	s_and_saveexec_b64 s[12:13], vcc
	s_cbranch_execz .LBB39_49
; %bb.28:
	v_mov_b32_e32 v19, 0
	v_lshlrev_b64 v[5:6], 4, v[18:19]
	v_mov_b32_e32 v7, s17
	v_add_co_u32_e32 v9, vcc, s16, v5
	v_addc_co_u32_e32 v10, vcc, v7, v6, vcc
	global_load_dwordx4 v[5:8], v[9:10], off
                                        ; implicit-def: $vgpr20_vgpr21
	s_waitcnt vmcnt(0)
	v_cmp_gt_f64_e32 vcc, 0, v[5:6]
	v_xor_b32_e32 v12, 0x80000000, v6
	v_xor_b32_e32 v18, 0x80000000, v8
	v_mov_b32_e32 v11, v5
	v_cndmask_b32_e32 v12, v6, v12, vcc
	v_cmp_gt_f64_e32 vcc, 0, v[7:8]
	v_cndmask_b32_e32 v19, v8, v18, vcc
	v_mov_b32_e32 v18, v7
	v_cmp_ngt_f64_e32 vcc, v[11:12], v[18:19]
	s_and_saveexec_b64 s[8:9], vcc
	s_xor_b64 s[8:9], exec, s[8:9]
	s_cbranch_execz .LBB39_32
; %bb.29:
	v_cmp_neq_f64_e32 vcc, 0, v[7:8]
	v_mov_b32_e32 v20, 0
	v_mov_b32_e32 v21, 0
	s_and_saveexec_b64 s[14:15], vcc
	s_cbranch_execz .LBB39_31
; %bb.30:
	v_div_scale_f64 v[20:21], s[16:17], v[18:19], v[18:19], v[11:12]
	s_mov_b32 s16, 0
	s_brev_b32 s17, 8
	v_rcp_f64_e32 v[22:23], v[20:21]
	v_fma_f64 v[25:26], -v[20:21], v[22:23], 1.0
	v_fma_f64 v[22:23], v[22:23], v[25:26], v[22:23]
	v_div_scale_f64 v[25:26], vcc, v[11:12], v[18:19], v[11:12]
	v_fma_f64 v[27:28], -v[20:21], v[22:23], 1.0
	v_fma_f64 v[22:23], v[22:23], v[27:28], v[22:23]
	v_mul_f64 v[27:28], v[25:26], v[22:23]
	v_fma_f64 v[20:21], -v[20:21], v[27:28], v[25:26]
	v_div_fmas_f64 v[20:21], v[20:21], v[22:23], v[27:28]
	v_div_fixup_f64 v[11:12], v[20:21], v[18:19], v[11:12]
	v_mov_b32_e32 v20, 0x100
	v_fma_f64 v[11:12], v[11:12], v[11:12], 1.0
	v_cmp_gt_f64_e32 vcc, s[16:17], v[11:12]
	v_cndmask_b32_e32 v20, 0, v20, vcc
	v_ldexp_f64 v[11:12], v[11:12], v20
	v_rsq_f64_e32 v[20:21], v[11:12]
	v_mul_f64 v[22:23], v[11:12], v[20:21]
	v_mul_f64 v[20:21], v[20:21], 0.5
	v_fma_f64 v[25:26], -v[20:21], v[22:23], 0.5
	v_fma_f64 v[22:23], v[22:23], v[25:26], v[22:23]
	v_fma_f64 v[20:21], v[20:21], v[25:26], v[20:21]
	v_fma_f64 v[25:26], -v[22:23], v[22:23], v[11:12]
	v_fma_f64 v[22:23], v[25:26], v[20:21], v[22:23]
	v_fma_f64 v[25:26], -v[22:23], v[22:23], v[11:12]
	v_fma_f64 v[20:21], v[25:26], v[20:21], v[22:23]
	v_mov_b32_e32 v22, 0xffffff80
	v_mov_b32_e32 v23, 0x260
	v_cndmask_b32_e32 v22, 0, v22, vcc
	v_cmp_class_f64_e32 vcc, v[11:12], v23
	v_ldexp_f64 v[20:21], v[20:21], v22
	v_cndmask_b32_e32 v12, v21, v12, vcc
	v_cndmask_b32_e32 v11, v20, v11, vcc
	v_mul_f64 v[20:21], v[18:19], v[11:12]
.LBB39_31:
	s_or_b64 exec, exec, s[14:15]
                                        ; implicit-def: $vgpr11_vgpr12
                                        ; implicit-def: $vgpr18_vgpr19
.LBB39_32:
	s_andn2_saveexec_b64 s[8:9], s[8:9]
	s_cbranch_execz .LBB39_34
; %bb.33:
	v_div_scale_f64 v[20:21], s[14:15], v[11:12], v[11:12], v[18:19]
	s_mov_b32 s14, 0
	s_brev_b32 s15, 8
	v_rcp_f64_e32 v[22:23], v[20:21]
	v_fma_f64 v[25:26], -v[20:21], v[22:23], 1.0
	v_fma_f64 v[22:23], v[22:23], v[25:26], v[22:23]
	v_div_scale_f64 v[25:26], vcc, v[18:19], v[11:12], v[18:19]
	v_fma_f64 v[27:28], -v[20:21], v[22:23], 1.0
	v_fma_f64 v[22:23], v[22:23], v[27:28], v[22:23]
	v_mul_f64 v[27:28], v[25:26], v[22:23]
	v_fma_f64 v[20:21], -v[20:21], v[27:28], v[25:26]
	v_div_fmas_f64 v[20:21], v[20:21], v[22:23], v[27:28]
	v_div_fixup_f64 v[18:19], v[20:21], v[11:12], v[18:19]
	v_mov_b32_e32 v20, 0x100
	v_fma_f64 v[18:19], v[18:19], v[18:19], 1.0
	v_cmp_gt_f64_e32 vcc, s[14:15], v[18:19]
	v_cndmask_b32_e32 v20, 0, v20, vcc
	v_ldexp_f64 v[18:19], v[18:19], v20
	v_rsq_f64_e32 v[20:21], v[18:19]
	v_mul_f64 v[22:23], v[18:19], v[20:21]
	v_mul_f64 v[20:21], v[20:21], 0.5
	v_fma_f64 v[25:26], -v[20:21], v[22:23], 0.5
	v_fma_f64 v[22:23], v[22:23], v[25:26], v[22:23]
	v_fma_f64 v[20:21], v[20:21], v[25:26], v[20:21]
	v_fma_f64 v[25:26], -v[22:23], v[22:23], v[18:19]
	v_fma_f64 v[22:23], v[25:26], v[20:21], v[22:23]
	v_fma_f64 v[25:26], -v[22:23], v[22:23], v[18:19]
	v_fma_f64 v[20:21], v[25:26], v[20:21], v[22:23]
	v_mov_b32_e32 v22, 0xffffff80
	v_mov_b32_e32 v23, 0x260
	v_cndmask_b32_e32 v22, 0, v22, vcc
	v_cmp_class_f64_e32 vcc, v[18:19], v23
	v_ldexp_f64 v[20:21], v[20:21], v22
	v_cndmask_b32_e32 v19, v21, v19, vcc
	v_cndmask_b32_e32 v18, v20, v18, vcc
	v_mul_f64 v[20:21], v[11:12], v[18:19]
.LBB39_34:
	s_or_b64 exec, exec, s[8:9]
	v_cmp_eq_u32_e64 s[8:9], 0, v0
	s_and_b64 vcc, exec, s[6:7]
	s_mov_b64 s[6:7], -1
	s_cbranch_vccnz .LBB39_38
; %bb.35:
	v_cvt_f64_f32_e32 v[11:12], v24
	s_cmp_eq_u64 s[36:37], 8
	s_cselect_b64 vcc, -1, 0
	v_cndmask_b32_e32 v12, v12, v16, vcc
	v_cndmask_b32_e32 v11, v11, v15, vcc
	v_cmp_le_f64_e32 vcc, v[20:21], v[11:12]
	s_and_b64 s[14:15], s[8:9], vcc
	s_and_saveexec_b64 s[6:7], s[14:15]
	s_cbranch_execz .LBB39_37
; %bb.36:
	global_store_dwordx4 v[9:10], v[1:4], off
.LBB39_37:
	s_or_b64 exec, exec, s[6:7]
	s_mov_b64 s[6:7], 0
.LBB39_38:
	s_andn2_b64 vcc, exec, s[6:7]
	s_cbranch_vccnz .LBB39_49
; %bb.39:
	s_load_dwordx2 s[4:5], s[4:5], 0x48
	v_add_u32_e32 v1, s10, v17
	s_waitcnt lgkmcnt(0)
	v_cmp_ge_f64_e32 vcc, s[4:5], v[20:21]
	s_and_b64 s[6:7], s[8:9], vcc
	s_and_saveexec_b64 s[4:5], s[6:7]
	s_cbranch_execz .LBB39_44
; %bb.40:
	s_mov_b64 s[6:7], exec
	s_brev_b32 s10, -2
.LBB39_41:                              ; =>This Inner Loop Header: Depth=1
	s_ff1_i32_b64 s11, s[6:7]
	v_readlane_b32 s16, v1, s11
	s_lshl_b64 s[14:15], 1, s11
	s_min_i32 s10, s10, s16
	s_andn2_b64 s[6:7], s[6:7], s[14:15]
	s_cmp_lg_u64 s[6:7], 0
	s_cbranch_scc1 .LBB39_41
; %bb.42:
	v_mbcnt_lo_u32_b32 v2, exec_lo, 0
	v_mbcnt_hi_u32_b32 v2, exec_hi, v2
	v_cmp_eq_u32_e32 vcc, 0, v2
	s_and_saveexec_b64 s[6:7], vcc
	s_xor_b64 s[6:7], exec, s[6:7]
	s_cbranch_execz .LBB39_44
; %bb.43:
	v_mov_b32_e32 v2, 0
	v_mov_b32_e32 v3, s10
	global_atomic_smin v2, v3, s[26:27]
.LBB39_44:
	s_or_b64 exec, exec, s[4:5]
	v_cmp_eq_f64_e32 vcc, 0, v[5:6]
	v_cmp_eq_f64_e64 s[4:5], 0, v[7:8]
	s_and_b64 s[4:5], vcc, s[4:5]
	s_and_b64 s[4:5], s[8:9], s[4:5]
	s_and_b64 exec, exec, s[4:5]
	s_cbranch_execz .LBB39_49
; %bb.45:
	s_mov_b64 s[4:5], exec
	s_brev_b32 s6, -2
.LBB39_46:                              ; =>This Inner Loop Header: Depth=1
	s_ff1_i32_b64 s7, s[4:5]
	v_readlane_b32 s10, v1, s7
	s_lshl_b64 s[8:9], 1, s7
	s_min_i32 s6, s6, s10
	s_andn2_b64 s[4:5], s[4:5], s[8:9]
	s_cmp_lg_u64 s[4:5], 0
	s_cbranch_scc1 .LBB39_46
; %bb.47:
	v_mbcnt_lo_u32_b32 v1, exec_lo, 0
	v_mbcnt_hi_u32_b32 v1, exec_hi, v1
	v_cmp_eq_u32_e32 vcc, 0, v1
	s_and_saveexec_b64 s[4:5], vcc
	s_xor_b64 s[4:5], exec, s[4:5]
	s_cbranch_execz .LBB39_49
; %bb.48:
	v_mov_b32_e32 v1, 0
	v_mov_b32_e32 v2, s6
	global_atomic_smin v1, v2, s[24:25]
.LBB39_49:
	s_or_b64 exec, exec, s[12:13]
	v_cmp_eq_u32_e32 vcc, 0, v0
	s_waitcnt vmcnt(0)
	buffer_wbinvl1_vol
	s_and_b64 exec, exec, vcc
	s_cbranch_execz .LBB39_51
; %bb.50:
	v_mov_b32_e32 v1, s21
	v_add_co_u32_e32 v0, vcc, s20, v13
	v_addc_co_u32_e32 v1, vcc, v1, v14, vcc
	v_mov_b32_e32 v2, 1
	global_store_dword v[0:1], v2, off
.LBB39_51:
	s_endpgm
	.section	.rodata,"a",@progbits
	.p2align	6, 0x0
	.amdhsa_kernel _ZN9rocsparseL17csrilu0_binsearchILj256ELj64ELb1E21rocsparse_complex_numIdEEEviPKiS4_PT2_S4_PiS4_S7_S7_d21rocsparse_index_base_imNS_24const_host_device_scalarIfEENS9_IdEENS9_IS5_EEb
		.amdhsa_group_segment_fixed_size 0
		.amdhsa_private_segment_fixed_size 16
		.amdhsa_kernarg_size 132
		.amdhsa_user_sgpr_count 8
		.amdhsa_user_sgpr_private_segment_buffer 1
		.amdhsa_user_sgpr_dispatch_ptr 0
		.amdhsa_user_sgpr_queue_ptr 0
		.amdhsa_user_sgpr_kernarg_segment_ptr 1
		.amdhsa_user_sgpr_dispatch_id 0
		.amdhsa_user_sgpr_flat_scratch_init 1
		.amdhsa_user_sgpr_private_segment_size 0
		.amdhsa_uses_dynamic_stack 0
		.amdhsa_system_sgpr_private_segment_wavefront_offset 1
		.amdhsa_system_sgpr_workgroup_id_x 1
		.amdhsa_system_sgpr_workgroup_id_y 0
		.amdhsa_system_sgpr_workgroup_id_z 0
		.amdhsa_system_sgpr_workgroup_info 0
		.amdhsa_system_vgpr_workitem_id 0
		.amdhsa_next_free_vgpr 43
		.amdhsa_next_free_sgpr 44
		.amdhsa_reserve_vcc 1
		.amdhsa_reserve_flat_scratch 1
		.amdhsa_float_round_mode_32 0
		.amdhsa_float_round_mode_16_64 0
		.amdhsa_float_denorm_mode_32 3
		.amdhsa_float_denorm_mode_16_64 3
		.amdhsa_dx10_clamp 1
		.amdhsa_ieee_mode 1
		.amdhsa_fp16_overflow 0
		.amdhsa_exception_fp_ieee_invalid_op 0
		.amdhsa_exception_fp_denorm_src 0
		.amdhsa_exception_fp_ieee_div_zero 0
		.amdhsa_exception_fp_ieee_overflow 0
		.amdhsa_exception_fp_ieee_underflow 0
		.amdhsa_exception_fp_ieee_inexact 0
		.amdhsa_exception_int_div_zero 0
	.end_amdhsa_kernel
	.section	.text._ZN9rocsparseL17csrilu0_binsearchILj256ELj64ELb1E21rocsparse_complex_numIdEEEviPKiS4_PT2_S4_PiS4_S7_S7_d21rocsparse_index_base_imNS_24const_host_device_scalarIfEENS9_IdEENS9_IS5_EEb,"axG",@progbits,_ZN9rocsparseL17csrilu0_binsearchILj256ELj64ELb1E21rocsparse_complex_numIdEEEviPKiS4_PT2_S4_PiS4_S7_S7_d21rocsparse_index_base_imNS_24const_host_device_scalarIfEENS9_IdEENS9_IS5_EEb,comdat
.Lfunc_end39:
	.size	_ZN9rocsparseL17csrilu0_binsearchILj256ELj64ELb1E21rocsparse_complex_numIdEEEviPKiS4_PT2_S4_PiS4_S7_S7_d21rocsparse_index_base_imNS_24const_host_device_scalarIfEENS9_IdEENS9_IS5_EEb, .Lfunc_end39-_ZN9rocsparseL17csrilu0_binsearchILj256ELj64ELb1E21rocsparse_complex_numIdEEEviPKiS4_PT2_S4_PiS4_S7_S7_d21rocsparse_index_base_imNS_24const_host_device_scalarIfEENS9_IdEENS9_IS5_EEb
                                        ; -- End function
	.set _ZN9rocsparseL17csrilu0_binsearchILj256ELj64ELb1E21rocsparse_complex_numIdEEEviPKiS4_PT2_S4_PiS4_S7_S7_d21rocsparse_index_base_imNS_24const_host_device_scalarIfEENS9_IdEENS9_IS5_EEb.num_vgpr, 43
	.set _ZN9rocsparseL17csrilu0_binsearchILj256ELj64ELb1E21rocsparse_complex_numIdEEEviPKiS4_PT2_S4_PiS4_S7_S7_d21rocsparse_index_base_imNS_24const_host_device_scalarIfEENS9_IdEENS9_IS5_EEb.num_agpr, 0
	.set _ZN9rocsparseL17csrilu0_binsearchILj256ELj64ELb1E21rocsparse_complex_numIdEEEviPKiS4_PT2_S4_PiS4_S7_S7_d21rocsparse_index_base_imNS_24const_host_device_scalarIfEENS9_IdEENS9_IS5_EEb.numbered_sgpr, 44
	.set _ZN9rocsparseL17csrilu0_binsearchILj256ELj64ELb1E21rocsparse_complex_numIdEEEviPKiS4_PT2_S4_PiS4_S7_S7_d21rocsparse_index_base_imNS_24const_host_device_scalarIfEENS9_IdEENS9_IS5_EEb.num_named_barrier, 0
	.set _ZN9rocsparseL17csrilu0_binsearchILj256ELj64ELb1E21rocsparse_complex_numIdEEEviPKiS4_PT2_S4_PiS4_S7_S7_d21rocsparse_index_base_imNS_24const_host_device_scalarIfEENS9_IdEENS9_IS5_EEb.private_seg_size, 16
	.set _ZN9rocsparseL17csrilu0_binsearchILj256ELj64ELb1E21rocsparse_complex_numIdEEEviPKiS4_PT2_S4_PiS4_S7_S7_d21rocsparse_index_base_imNS_24const_host_device_scalarIfEENS9_IdEENS9_IS5_EEb.uses_vcc, 1
	.set _ZN9rocsparseL17csrilu0_binsearchILj256ELj64ELb1E21rocsparse_complex_numIdEEEviPKiS4_PT2_S4_PiS4_S7_S7_d21rocsparse_index_base_imNS_24const_host_device_scalarIfEENS9_IdEENS9_IS5_EEb.uses_flat_scratch, 1
	.set _ZN9rocsparseL17csrilu0_binsearchILj256ELj64ELb1E21rocsparse_complex_numIdEEEviPKiS4_PT2_S4_PiS4_S7_S7_d21rocsparse_index_base_imNS_24const_host_device_scalarIfEENS9_IdEENS9_IS5_EEb.has_dyn_sized_stack, 0
	.set _ZN9rocsparseL17csrilu0_binsearchILj256ELj64ELb1E21rocsparse_complex_numIdEEEviPKiS4_PT2_S4_PiS4_S7_S7_d21rocsparse_index_base_imNS_24const_host_device_scalarIfEENS9_IdEENS9_IS5_EEb.has_recursion, 0
	.set _ZN9rocsparseL17csrilu0_binsearchILj256ELj64ELb1E21rocsparse_complex_numIdEEEviPKiS4_PT2_S4_PiS4_S7_S7_d21rocsparse_index_base_imNS_24const_host_device_scalarIfEENS9_IdEENS9_IS5_EEb.has_indirect_call, 0
	.section	.AMDGPU.csdata,"",@progbits
; Kernel info:
; codeLenInByte = 2396
; TotalNumSgprs: 50
; NumVgprs: 43
; ScratchSize: 16
; MemoryBound: 0
; FloatMode: 240
; IeeeMode: 1
; LDSByteSize: 0 bytes/workgroup (compile time only)
; SGPRBlocks: 6
; VGPRBlocks: 10
; NumSGPRsForWavesPerEU: 50
; NumVGPRsForWavesPerEU: 43
; Occupancy: 5
; WaveLimiterHint : 1
; COMPUTE_PGM_RSRC2:SCRATCH_EN: 1
; COMPUTE_PGM_RSRC2:USER_SGPR: 8
; COMPUTE_PGM_RSRC2:TRAP_HANDLER: 0
; COMPUTE_PGM_RSRC2:TGID_X_EN: 1
; COMPUTE_PGM_RSRC2:TGID_Y_EN: 0
; COMPUTE_PGM_RSRC2:TGID_Z_EN: 0
; COMPUTE_PGM_RSRC2:TIDIG_COMP_CNT: 0
	.section	.text._ZN9rocsparseL12csrilu0_hashILj256ELj32ELj1E21rocsparse_complex_numIdEEEviPKiS4_PT2_S4_PiS4_S7_S7_d21rocsparse_index_base_imNS_24const_host_device_scalarIfEENS9_IdEENS9_IS5_EEb,"axG",@progbits,_ZN9rocsparseL12csrilu0_hashILj256ELj32ELj1E21rocsparse_complex_numIdEEEviPKiS4_PT2_S4_PiS4_S7_S7_d21rocsparse_index_base_imNS_24const_host_device_scalarIfEENS9_IdEENS9_IS5_EEb,comdat
	.globl	_ZN9rocsparseL12csrilu0_hashILj256ELj32ELj1E21rocsparse_complex_numIdEEEviPKiS4_PT2_S4_PiS4_S7_S7_d21rocsparse_index_base_imNS_24const_host_device_scalarIfEENS9_IdEENS9_IS5_EEb ; -- Begin function _ZN9rocsparseL12csrilu0_hashILj256ELj32ELj1E21rocsparse_complex_numIdEEEviPKiS4_PT2_S4_PiS4_S7_S7_d21rocsparse_index_base_imNS_24const_host_device_scalarIfEENS9_IdEENS9_IS5_EEb
	.p2align	8
	.type	_ZN9rocsparseL12csrilu0_hashILj256ELj32ELj1E21rocsparse_complex_numIdEEEviPKiS4_PT2_S4_PiS4_S7_S7_d21rocsparse_index_base_imNS_24const_host_device_scalarIfEENS9_IdEENS9_IS5_EEb,@function
_ZN9rocsparseL12csrilu0_hashILj256ELj32ELj1E21rocsparse_complex_numIdEEEviPKiS4_PT2_S4_PiS4_S7_S7_d21rocsparse_index_base_imNS_24const_host_device_scalarIfEENS9_IdEENS9_IS5_EEb: ; @_ZN9rocsparseL12csrilu0_hashILj256ELj32ELj1E21rocsparse_complex_numIdEEEviPKiS4_PT2_S4_PiS4_S7_S7_d21rocsparse_index_base_imNS_24const_host_device_scalarIfEENS9_IdEENS9_IS5_EEb
; %bb.0:
	s_add_u32 flat_scratch_lo, s6, s9
	s_load_dword s6, s[4:5], 0x80
	s_load_dwordx8 s[36:43], s[4:5], 0x58
	s_load_dwordx2 s[12:13], s[4:5], 0x78
	s_load_dwordx2 s[10:11], s[4:5], 0x50
	s_addc_u32 flat_scratch_hi, s7, 0
	s_add_u32 s0, s0, s9
	s_addc_u32 s1, s1, 0
	s_waitcnt lgkmcnt(0)
	s_bitcmp1_b32 s6, 0
	s_cselect_b64 s[14:15], -1, 0
	s_cmp_eq_u32 s11, 0
	s_cselect_b64 s[20:21], -1, 0
	s_cmp_lg_u32 s11, 0
	s_cselect_b64 s[16:17], -1, 0
	s_or_b64 s[22:23], s[20:21], s[14:15]
	s_xor_b64 s[6:7], s[22:23], -1
	v_mov_b32_e32 v1, s43
	s_and_b64 s[18:19], s[20:21], exec
	buffer_store_dword v1, off, s[0:3], 0 offset:4
	v_mov_b32_e32 v1, s42
	s_cselect_b32 s19, 0, s41
	s_cselect_b32 s18, 0, s40
	s_and_b64 vcc, exec, s[22:23]
	buffer_store_dword v1, off, s[0:3], 0
	s_cbranch_vccnz .LBB40_2
; %bb.1:
	s_load_dword s9, s[38:39], 0x0
	s_mov_b64 s[18:19], s[40:41]
	s_waitcnt lgkmcnt(0)
	v_mov_b32_e32 v25, s9
	v_mov_b32_e32 v15, s18
	s_andn2_b64 vcc, exec, s[6:7]
	v_mov_b32_e32 v16, s19
	s_cbranch_vccz .LBB40_3
	s_branch .LBB40_4
.LBB40_2:
	v_mov_b32_e32 v1, s38
	v_cndmask_b32_e64 v25, v1, 0, s[20:21]
	v_mov_b32_e32 v15, s18
	s_andn2_b64 vcc, exec, s[6:7]
	v_mov_b32_e32 v16, s19
	s_cbranch_vccnz .LBB40_4
.LBB40_3:
	v_mov_b32_e32 v1, s40
	v_mov_b32_e32 v2, s41
	flat_load_dwordx2 v[15:16], v[1:2]
.LBB40_4:
	v_cndmask_b32_e64 v1, 0, 1, s[16:17]
	v_mov_b32_e32 v3, 0
	v_cmp_ne_u32_e64 s[6:7], 1, v1
	v_mov_b32_e32 v1, 0
	v_mov_b32_e32 v4, 0
	s_andn2_b64 vcc, exec, s[16:17]
	v_mov_b32_e32 v2, 0
	s_cbranch_vccnz .LBB40_7
; %bb.5:
	s_xor_b64 s[18:19], s[14:15], -1
	s_mov_b64 s[16:17], src_private_base
	s_and_b64 s[14:15], s[14:15], exec
	s_cselect_b32 s9, s17, s43
	s_cselect_b32 s11, 0, s42
	v_mov_b32_e32 v1, s11
	v_mov_b32_e32 v2, s9
	flat_load_dwordx2 v[1:2], v[1:2]
	v_mov_b32_e32 v3, s12
	s_andn2_b64 vcc, exec, s[18:19]
	v_mov_b32_e32 v4, s13
	s_cbranch_vccnz .LBB40_7
; %bb.6:
	v_mov_b32_e32 v3, s42
	v_mov_b32_e32 v4, s43
	flat_load_dwordx2 v[3:4], v[3:4] offset:8
.LBB40_7:
	s_load_dword s9, s[4:5], 0x0
	s_lshl_b32 s8, s8, 3
	v_and_b32_e32 v24, 31, v0
	v_and_b32_e32 v5, 0xe0, v0
	v_mov_b32_e32 v6, 0x400
	v_lshrrev_b32_e32 v0, 5, v0
	s_and_b32 s8, s8, 0x7fffff8
	v_lshl_or_b32 v26, v5, 2, v6
	v_or_b32_e32 v0, s8, v0
	v_lshl_or_b32 v6, v24, 2, v26
	v_mov_b32_e32 v7, -1
	s_waitcnt lgkmcnt(0)
	v_cmp_gt_i32_e32 vcc, s9, v0
	ds_write_b32 v6, v7
	s_waitcnt lgkmcnt(0)
	s_and_saveexec_b64 s[8:9], vcc
	s_cbranch_execz .LBB40_85
; %bb.8:
	s_load_dwordx16 s[12:27], s[4:5], 0x8
	v_lshlrev_b32_e32 v0, 2, v0
	s_waitcnt lgkmcnt(0)
	global_load_dword v17, v0, s[22:23]
	v_mov_b32_e32 v7, s13
	v_mov_b32_e32 v0, s19
	s_waitcnt vmcnt(0)
	v_ashrrev_i32_e32 v18, 31, v17
	v_lshlrev_b64 v[13:14], 2, v[17:18]
	v_add_co_u32_e32 v6, vcc, s12, v13
	v_addc_co_u32_e32 v7, vcc, v7, v14, vcc
	global_load_dwordx2 v[6:7], v[6:7], off
	v_add_co_u32_e32 v8, vcc, s18, v13
	v_addc_co_u32_e32 v9, vcc, v0, v14, vcc
	global_load_dword v18, v[8:9], off
	v_lshlrev_b32_e32 v0, 2, v5
	s_waitcnt vmcnt(1)
	v_subrev_u32_e32 v19, s10, v6
	v_subrev_u32_e32 v7, s10, v7
	v_add_u32_e32 v5, v19, v24
	v_cmp_lt_i32_e32 vcc, v5, v7
	s_and_saveexec_b64 s[8:9], vcc
	s_cbranch_execz .LBB40_31
; %bb.9:
	s_mov_b64 s[22:23], 0
	v_mov_b32_e32 v8, s15
	v_mov_b32_e32 v9, -1
	s_branch .LBB40_11
.LBB40_10:                              ;   in Loop: Header=BB40_11 Depth=1
	s_or_b64 exec, exec, s[28:29]
	v_add_u32_e32 v5, 32, v5
	v_cmp_ge_i32_e32 vcc, v5, v7
	s_or_b64 s[22:23], vcc, s[22:23]
	s_andn2_b64 exec, exec, s[22:23]
	s_cbranch_execz .LBB40_31
.LBB40_11:                              ; =>This Loop Header: Depth=1
                                        ;     Child Loop BB40_20 Depth 2
	v_ashrrev_i32_e32 v6, 31, v5
	v_lshlrev_b64 v[10:11], 2, v[5:6]
	s_mov_b64 s[30:31], 0
	v_add_co_u32_e32 v10, vcc, s14, v10
	v_addc_co_u32_e32 v11, vcc, v8, v11, vcc
	global_load_dword v6, v[10:11], off
	v_mov_b32_e32 v10, 32
                                        ; implicit-def: $sgpr28_sgpr29
                                        ; implicit-def: $sgpr34_sgpr35
                                        ; implicit-def: $sgpr38_sgpr39
	s_waitcnt vmcnt(0)
	v_mul_lo_u32 v12, v6, 7
	s_branch .LBB40_20
.LBB40_12:                              ;   in Loop: Header=BB40_20 Depth=2
	s_or_b64 exec, exec, s[58:59]
	s_orn2_b64 s[54:55], s[54:55], exec
	s_orn2_b64 s[56:57], s[56:57], exec
.LBB40_13:                              ;   in Loop: Header=BB40_20 Depth=2
	s_or_b64 exec, exec, s[52:53]
	s_and_b64 s[54:55], s[54:55], exec
	s_orn2_b64 s[52:53], s[56:57], exec
.LBB40_14:                              ;   in Loop: Header=BB40_20 Depth=2
	s_or_b64 exec, exec, s[50:51]
	s_orn2_b64 s[54:55], s[54:55], exec
	s_orn2_b64 s[50:51], s[52:53], exec
.LBB40_15:                              ;   in Loop: Header=BB40_20 Depth=2
	s_or_b64 exec, exec, s[48:49]
	s_and_b64 s[52:53], s[54:55], exec
	s_orn2_b64 s[48:49], s[50:51], exec
.LBB40_16:                              ;   in Loop: Header=BB40_20 Depth=2
	s_or_b64 exec, exec, s[46:47]
	s_orn2_b64 s[46:47], s[52:53], exec
	s_orn2_b64 s[48:49], s[48:49], exec
.LBB40_17:                              ;   in Loop: Header=BB40_20 Depth=2
	s_or_b64 exec, exec, s[44:45]
	s_and_b64 s[46:47], s[46:47], exec
	s_orn2_b64 s[44:45], s[48:49], exec
.LBB40_18:                              ;   in Loop: Header=BB40_20 Depth=2
	s_or_b64 exec, exec, s[42:43]
	s_andn2_b64 s[38:39], s[38:39], exec
	s_and_b64 s[42:43], s[46:47], exec
	s_or_b64 s[38:39], s[38:39], s[42:43]
	s_andn2_b64 s[34:35], s[34:35], exec
	s_and_b64 s[42:43], s[44:45], exec
	s_or_b64 s[34:35], s[34:35], s[42:43]
.LBB40_19:                              ;   in Loop: Header=BB40_20 Depth=2
	s_or_b64 exec, exec, s[40:41]
	s_and_b64 s[40:41], exec, s[34:35]
	s_or_b64 s[30:31], s[40:41], s[30:31]
	s_andn2_b64 s[28:29], s[28:29], exec
	s_and_b64 s[40:41], s[38:39], exec
	s_or_b64 s[28:29], s[28:29], s[40:41]
	s_andn2_b64 exec, exec, s[30:31]
	s_cbranch_execz .LBB40_29
.LBB40_20:                              ;   Parent Loop BB40_11 Depth=1
                                        ; =>  This Inner Loop Header: Depth=2
	v_and_b32_e32 v11, 31, v12
	v_lshl_add_u32 v20, v11, 2, v26
	ds_read_b32 v21, v20
	s_or_b64 s[38:39], s[38:39], exec
	s_or_b64 s[34:35], s[34:35], exec
	s_waitcnt lgkmcnt(0)
	v_cmp_ne_u32_e32 vcc, v21, v6
	s_and_saveexec_b64 s[40:41], vcc
	s_cbranch_execz .LBB40_19
; %bb.21:                               ;   in Loop: Header=BB40_20 Depth=2
	ds_cmpst_rtn_b32 v20, v20, v9, v6
	s_mov_b64 s[44:45], -1
	s_mov_b64 s[46:47], 0
	s_waitcnt lgkmcnt(0)
	v_cmp_ne_u32_e32 vcc, -1, v20
	s_and_saveexec_b64 s[42:43], vcc
	s_cbranch_execz .LBB40_18
; %bb.22:                               ;   in Loop: Header=BB40_20 Depth=2
	v_add_u32_e32 v11, 1, v12
	v_and_b32_e32 v11, 31, v11
	v_lshl_add_u32 v20, v11, 2, v26
	ds_read_b32 v21, v20
	s_mov_b64 s[48:49], -1
	s_mov_b64 s[46:47], -1
	s_waitcnt lgkmcnt(0)
	v_cmp_ne_u32_e32 vcc, v21, v6
	s_and_saveexec_b64 s[44:45], vcc
	s_cbranch_execz .LBB40_17
; %bb.23:                               ;   in Loop: Header=BB40_20 Depth=2
	ds_cmpst_rtn_b32 v20, v20, v9, v6
	s_mov_b64 s[52:53], 0
	s_waitcnt lgkmcnt(0)
	v_cmp_ne_u32_e32 vcc, -1, v20
	s_and_saveexec_b64 s[46:47], vcc
	s_cbranch_execz .LBB40_16
; %bb.24:                               ;   in Loop: Header=BB40_20 Depth=2
	v_add_u32_e32 v11, 2, v12
	v_and_b32_e32 v11, 31, v11
	v_lshl_add_u32 v20, v11, 2, v26
	ds_read_b32 v21, v20
	s_mov_b64 s[50:51], -1
	s_mov_b64 s[54:55], -1
	s_waitcnt lgkmcnt(0)
	v_cmp_ne_u32_e32 vcc, v21, v6
	s_and_saveexec_b64 s[48:49], vcc
	s_cbranch_execz .LBB40_15
; %bb.25:                               ;   in Loop: Header=BB40_20 Depth=2
	ds_cmpst_rtn_b32 v20, v20, v9, v6
	s_mov_b64 s[52:53], -1
	s_mov_b64 s[54:55], 0
	s_waitcnt lgkmcnt(0)
	v_cmp_ne_u32_e32 vcc, -1, v20
	s_and_saveexec_b64 s[50:51], vcc
	s_cbranch_execz .LBB40_14
; %bb.26:                               ;   in Loop: Header=BB40_20 Depth=2
	v_add_u32_e32 v11, 3, v12
	v_and_b32_e32 v11, 31, v11
	v_lshl_add_u32 v20, v11, 2, v26
	ds_read_b32 v12, v20
	s_mov_b64 s[56:57], -1
	s_mov_b64 s[54:55], -1
	s_waitcnt lgkmcnt(0)
	v_cmp_ne_u32_e32 vcc, v12, v6
                                        ; implicit-def: $vgpr12
	s_and_saveexec_b64 s[52:53], vcc
	s_cbranch_execz .LBB40_13
; %bb.27:                               ;   in Loop: Header=BB40_20 Depth=2
	ds_cmpst_rtn_b32 v12, v20, v9, v6
	s_mov_b64 s[54:55], 0
	s_waitcnt lgkmcnt(0)
	v_cmp_ne_u32_e32 vcc, -1, v12
                                        ; implicit-def: $vgpr12
	s_and_saveexec_b64 s[58:59], vcc
	s_cbranch_execz .LBB40_12
; %bb.28:                               ;   in Loop: Header=BB40_20 Depth=2
	v_add_u32_e32 v10, -4, v10
	v_cmp_eq_u32_e32 vcc, 0, v10
	s_mov_b64 s[54:55], exec
	v_add_u32_e32 v12, 1, v11
	s_orn2_b64 s[56:57], vcc, exec
	s_branch .LBB40_12
.LBB40_29:                              ;   in Loop: Header=BB40_11 Depth=1
	s_or_b64 exec, exec, s[30:31]
	s_xor_b64 s[28:29], s[28:29], -1
	s_and_saveexec_b64 s[30:31], s[28:29]
	s_xor_b64 s[28:29], exec, s[30:31]
	s_cbranch_execz .LBB40_10
; %bb.30:                               ;   in Loop: Header=BB40_11 Depth=1
	v_lshl_add_u32 v6, v11, 2, v0
	ds_write_b32 v6, v5
	s_branch .LBB40_10
.LBB40_31:
	s_or_b64 exec, exec, s[8:9]
	s_waitcnt vmcnt(0)
	v_cmp_lt_i32_e32 vcc, v19, v18
	s_waitcnt lgkmcnt(0)
	s_and_saveexec_b64 s[22:23], vcc
	s_cbranch_execz .LBB40_61
; %bb.32:
	v_add_u32_e32 v27, 1, v24
	s_mov_b64 s[28:29], 0
	v_mov_b32_e32 v28, s15
	v_mov_b32_e32 v29, s17
	;; [unrolled: 1-line block ×5, first 2 shown]
	s_branch .LBB40_35
.LBB40_33:                              ;   in Loop: Header=BB40_35 Depth=1
	s_or_b64 exec, exec, s[30:31]
	v_add_u32_e32 v19, 1, v19
	v_cmp_ge_i32_e32 vcc, v19, v18
	s_orn2_b64 s[30:31], vcc, exec
.LBB40_34:                              ;   in Loop: Header=BB40_35 Depth=1
	s_or_b64 exec, exec, s[8:9]
	s_and_b64 s[8:9], exec, s[30:31]
	s_or_b64 s[28:29], s[8:9], s[28:29]
	s_andn2_b64 exec, exec, s[28:29]
	s_cbranch_execz .LBB40_61
.LBB40_35:                              ; =>This Loop Header: Depth=1
                                        ;     Child Loop BB40_36 Depth 2
                                        ;     Child Loop BB40_41 Depth 2
                                        ;       Child Loop BB40_50 Depth 3
	v_ashrrev_i32_e32 v20, 31, v19
	v_lshlrev_b64 v[5:6], 2, v[19:20]
	s_mov_b64 s[8:9], 0
	v_add_co_u32_e32 v5, vcc, s14, v5
	v_addc_co_u32_e32 v6, vcc, v28, v6, vcc
	global_load_dword v9, v[5:6], off
	v_lshlrev_b64 v[5:6], 4, v[19:20]
	v_add_co_u32_e32 v20, vcc, s16, v5
	v_addc_co_u32_e32 v21, vcc, v29, v6, vcc
	global_load_dwordx4 v[5:8], v[20:21], off
	s_waitcnt vmcnt(1)
	v_subrev_u32_e32 v9, s10, v9
	v_ashrrev_i32_e32 v10, 31, v9
	v_lshlrev_b64 v[9:10], 2, v[9:10]
	v_add_co_u32_e32 v22, vcc, s12, v9
	v_addc_co_u32_e32 v23, vcc, v30, v10, vcc
	v_add_co_u32_e32 v33, vcc, s18, v9
	v_addc_co_u32_e32 v34, vcc, v31, v10, vcc
	global_load_dword v11, v[22:23], off offset:4
	global_load_dword v12, v[33:34], off
	v_add_co_u32_e32 v9, vcc, s20, v9
	v_addc_co_u32_e32 v10, vcc, v32, v10, vcc
.LBB40_36:                              ;   Parent Loop BB40_35 Depth=1
                                        ; =>  This Inner Loop Header: Depth=2
	global_load_dword v22, v[9:10], off glc
	s_waitcnt vmcnt(0)
	v_cmp_ne_u32_e32 vcc, 0, v22
	s_or_b64 s[8:9], vcc, s[8:9]
	s_andn2_b64 exec, exec, s[8:9]
	s_cbranch_execnz .LBB40_36
; %bb.37:                               ;   in Loop: Header=BB40_35 Depth=1
	s_or_b64 exec, exec, s[8:9]
	v_subrev_u32_e32 v33, s10, v11
	v_add_u32_e32 v9, -1, v33
	v_cmp_eq_u32_e32 vcc, -1, v12
	v_cndmask_b32_e32 v22, v12, v9, vcc
	v_ashrrev_i32_e32 v23, 31, v22
	v_lshlrev_b64 v[9:10], 4, v[22:23]
	v_mov_b32_e32 v11, s17
	v_add_co_u32_e32 v9, vcc, s16, v9
	v_addc_co_u32_e32 v10, vcc, v11, v10, vcc
	buffer_wbinvl1_vol
	global_load_dwordx4 v[9:12], v[9:10], off
	s_mov_b64 s[30:31], -1
	s_waitcnt vmcnt(0)
	v_cmp_neq_f64_e32 vcc, 0, v[9:10]
	v_cmp_neq_f64_e64 s[8:9], 0, v[11:12]
	s_or_b64 s[34:35], vcc, s[8:9]
	s_and_saveexec_b64 s[8:9], s[34:35]
	s_cbranch_execz .LBB40_34
; %bb.38:                               ;   in Loop: Header=BB40_35 Depth=1
	v_mul_f64 v[34:35], v[11:12], v[11:12]
	v_fma_f64 v[34:35], v[9:10], v[9:10], v[34:35]
	v_div_scale_f64 v[36:37], s[30:31], v[34:35], v[34:35], 1.0
	v_rcp_f64_e32 v[38:39], v[36:37]
	v_fma_f64 v[40:41], -v[36:37], v[38:39], 1.0
	v_fma_f64 v[38:39], v[38:39], v[40:41], v[38:39]
	v_div_scale_f64 v[40:41], vcc, 1.0, v[34:35], 1.0
	v_fma_f64 v[42:43], -v[36:37], v[38:39], 1.0
	v_fma_f64 v[38:39], v[38:39], v[42:43], v[38:39]
	v_mul_f64 v[42:43], v[40:41], v[38:39]
	v_fma_f64 v[36:37], -v[36:37], v[42:43], v[40:41]
	v_div_fmas_f64 v[36:37], v[36:37], v[38:39], v[42:43]
	v_mul_f64 v[38:39], v[7:8], v[11:12]
	v_mul_f64 v[11:12], v[11:12], -v[5:6]
	v_fma_f64 v[5:6], v[5:6], v[9:10], v[38:39]
	v_fma_f64 v[7:8], v[7:8], v[9:10], v[11:12]
	v_add_u32_e32 v9, v27, v22
	v_cmp_lt_i32_e32 vcc, v9, v33
	v_div_fixup_f64 v[34:35], v[36:37], v[34:35], 1.0
	v_mul_f64 v[5:6], v[5:6], v[34:35]
	v_mul_f64 v[7:8], v[7:8], v[34:35]
	global_store_dwordx4 v[20:21], v[5:8], off
	s_and_saveexec_b64 s[30:31], vcc
	s_cbranch_execz .LBB40_33
; %bb.39:                               ;   in Loop: Header=BB40_35 Depth=1
	s_mov_b64 s[34:35], 0
	s_branch .LBB40_41
.LBB40_40:                              ;   in Loop: Header=BB40_41 Depth=2
	s_or_b64 exec, exec, s[38:39]
	v_add_u32_e32 v9, 32, v9
	v_cmp_ge_i32_e32 vcc, v9, v33
	s_or_b64 s[34:35], vcc, s[34:35]
	s_andn2_b64 exec, exec, s[34:35]
	s_cbranch_execz .LBB40_33
.LBB40_41:                              ;   Parent Loop BB40_35 Depth=1
                                        ; =>  This Loop Header: Depth=2
                                        ;       Child Loop BB40_50 Depth 3
	v_ashrrev_i32_e32 v10, 31, v9
	v_lshlrev_b64 v[11:12], 2, v[9:10]
	v_mov_b32_e32 v20, s15
	v_add_co_u32_e32 v11, vcc, s14, v11
	v_addc_co_u32_e32 v12, vcc, v20, v12, vcc
	global_load_dword v11, v[11:12], off
	v_mov_b32_e32 v12, 32
	s_mov_b64 s[40:41], 0
                                        ; implicit-def: $sgpr38_sgpr39
                                        ; implicit-def: $sgpr42_sgpr43
                                        ; implicit-def: $sgpr44_sgpr45
	s_waitcnt vmcnt(0)
	v_mul_lo_u32 v21, v11, 7
	s_branch .LBB40_50
.LBB40_42:                              ;   in Loop: Header=BB40_50 Depth=3
	s_or_b64 exec, exec, s[64:65]
	s_orn2_b64 s[60:61], s[60:61], exec
	s_orn2_b64 s[62:63], s[62:63], exec
.LBB40_43:                              ;   in Loop: Header=BB40_50 Depth=3
	s_or_b64 exec, exec, s[58:59]
	s_and_b64 s[60:61], s[60:61], exec
	s_orn2_b64 s[58:59], s[62:63], exec
.LBB40_44:                              ;   in Loop: Header=BB40_50 Depth=3
	s_or_b64 exec, exec, s[56:57]
	s_orn2_b64 s[60:61], s[60:61], exec
	s_orn2_b64 s[56:57], s[58:59], exec
.LBB40_45:                              ;   in Loop: Header=BB40_50 Depth=3
	s_or_b64 exec, exec, s[54:55]
	s_and_b64 s[58:59], s[60:61], exec
	s_orn2_b64 s[54:55], s[56:57], exec
.LBB40_46:                              ;   in Loop: Header=BB40_50 Depth=3
	s_or_b64 exec, exec, s[52:53]
	s_orn2_b64 s[52:53], s[58:59], exec
	s_orn2_b64 s[54:55], s[54:55], exec
.LBB40_47:                              ;   in Loop: Header=BB40_50 Depth=3
	s_or_b64 exec, exec, s[50:51]
	s_and_b64 s[52:53], s[52:53], exec
	s_orn2_b64 s[50:51], s[54:55], exec
.LBB40_48:                              ;   in Loop: Header=BB40_50 Depth=3
	s_or_b64 exec, exec, s[48:49]
	s_andn2_b64 s[44:45], s[44:45], exec
	s_and_b64 s[48:49], s[52:53], exec
	s_or_b64 s[44:45], s[44:45], s[48:49]
	s_andn2_b64 s[42:43], s[42:43], exec
	s_and_b64 s[48:49], s[50:51], exec
	s_or_b64 s[42:43], s[42:43], s[48:49]
.LBB40_49:                              ;   in Loop: Header=BB40_50 Depth=3
	s_or_b64 exec, exec, s[46:47]
	s_and_b64 s[46:47], exec, s[42:43]
	s_or_b64 s[40:41], s[46:47], s[40:41]
	s_andn2_b64 s[38:39], s[38:39], exec
	s_and_b64 s[46:47], s[44:45], exec
	s_or_b64 s[38:39], s[38:39], s[46:47]
	s_andn2_b64 exec, exec, s[40:41]
	s_cbranch_execz .LBB40_59
.LBB40_50:                              ;   Parent Loop BB40_35 Depth=1
                                        ;     Parent Loop BB40_41 Depth=2
                                        ; =>    This Inner Loop Header: Depth=3
	v_and_b32_e32 v20, 31, v21
	v_lshl_add_u32 v22, v20, 2, v26
	ds_read_b32 v22, v22
	s_or_b64 s[44:45], s[44:45], exec
	s_or_b64 s[42:43], s[42:43], exec
	s_waitcnt lgkmcnt(0)
	v_cmp_ne_u32_e32 vcc, -1, v22
	s_and_saveexec_b64 s[46:47], vcc
	s_cbranch_execz .LBB40_49
; %bb.51:                               ;   in Loop: Header=BB40_50 Depth=3
	v_cmp_ne_u32_e32 vcc, v22, v11
	s_mov_b64 s[50:51], -1
	s_mov_b64 s[52:53], 0
	s_and_saveexec_b64 s[48:49], vcc
	s_cbranch_execz .LBB40_48
; %bb.52:                               ;   in Loop: Header=BB40_50 Depth=3
	v_add_u32_e32 v20, 1, v21
	v_and_b32_e32 v20, 31, v20
	v_lshl_add_u32 v22, v20, 2, v26
	ds_read_b32 v22, v22
	s_mov_b64 s[54:55], -1
	s_mov_b64 s[52:53], -1
	s_waitcnt lgkmcnt(0)
	v_cmp_ne_u32_e32 vcc, -1, v22
	s_and_saveexec_b64 s[50:51], vcc
	s_cbranch_execz .LBB40_47
; %bb.53:                               ;   in Loop: Header=BB40_50 Depth=3
	v_cmp_ne_u32_e32 vcc, v22, v11
	s_mov_b64 s[58:59], 0
	s_and_saveexec_b64 s[52:53], vcc
	s_cbranch_execz .LBB40_46
; %bb.54:                               ;   in Loop: Header=BB40_50 Depth=3
	v_add_u32_e32 v20, 2, v21
	v_and_b32_e32 v20, 31, v20
	v_lshl_add_u32 v22, v20, 2, v26
	ds_read_b32 v22, v22
	s_mov_b64 s[56:57], -1
	s_mov_b64 s[60:61], -1
	s_waitcnt lgkmcnt(0)
	v_cmp_ne_u32_e32 vcc, -1, v22
	s_and_saveexec_b64 s[54:55], vcc
	s_cbranch_execz .LBB40_45
; %bb.55:                               ;   in Loop: Header=BB40_50 Depth=3
	v_cmp_ne_u32_e32 vcc, v22, v11
	s_mov_b64 s[58:59], -1
	s_mov_b64 s[60:61], 0
	s_and_saveexec_b64 s[56:57], vcc
	s_cbranch_execz .LBB40_44
; %bb.56:                               ;   in Loop: Header=BB40_50 Depth=3
	v_add_u32_e32 v20, 3, v21
	v_and_b32_e32 v20, 31, v20
	v_lshl_add_u32 v21, v20, 2, v26
	ds_read_b32 v22, v21
	s_mov_b64 s[62:63], -1
	s_mov_b64 s[60:61], -1
                                        ; implicit-def: $vgpr21
	s_waitcnt lgkmcnt(0)
	v_cmp_ne_u32_e32 vcc, -1, v22
	s_and_saveexec_b64 s[58:59], vcc
	s_cbranch_execz .LBB40_43
; %bb.57:                               ;   in Loop: Header=BB40_50 Depth=3
	v_cmp_ne_u32_e32 vcc, v22, v11
	s_mov_b64 s[60:61], 0
                                        ; implicit-def: $vgpr21
	s_and_saveexec_b64 s[64:65], vcc
	s_cbranch_execz .LBB40_42
; %bb.58:                               ;   in Loop: Header=BB40_50 Depth=3
	v_add_u32_e32 v12, -4, v12
	v_cmp_eq_u32_e32 vcc, 0, v12
	s_mov_b64 s[60:61], exec
	v_add_u32_e32 v21, 1, v20
	s_orn2_b64 s[62:63], vcc, exec
	s_branch .LBB40_42
.LBB40_59:                              ;   in Loop: Header=BB40_41 Depth=2
	s_or_b64 exec, exec, s[40:41]
	s_xor_b64 s[38:39], s[38:39], -1
	s_and_saveexec_b64 s[40:41], s[38:39]
	s_xor_b64 s[38:39], exec, s[40:41]
	s_cbranch_execz .LBB40_40
; %bb.60:                               ;   in Loop: Header=BB40_41 Depth=2
	v_lshl_add_u32 v11, v20, 2, v0
	ds_read_b32 v11, v11
	v_lshlrev_b64 v[20:21], 4, v[9:10]
	v_mov_b32_e32 v22, s17
	v_add_co_u32_e32 v38, vcc, s16, v20
	s_waitcnt lgkmcnt(0)
	v_ashrrev_i32_e32 v12, 31, v11
	v_lshlrev_b64 v[10:11], 4, v[11:12]
	v_addc_co_u32_e32 v39, vcc, v22, v21, vcc
	v_add_co_u32_e32 v10, vcc, s16, v10
	v_addc_co_u32_e32 v11, vcc, v22, v11, vcc
	global_load_dwordx4 v[20:23], v[38:39], off
	global_load_dwordx4 v[34:37], v[10:11], off
	s_waitcnt vmcnt(0)
	v_fma_f64 v[34:35], -v[5:6], v[20:21], v[34:35]
	v_fma_f64 v[36:37], -v[7:8], v[20:21], v[36:37]
	v_fma_f64 v[20:21], v[7:8], v[22:23], v[34:35]
	v_fma_f64 v[22:23], -v[5:6], v[22:23], v[36:37]
	global_store_dwordx4 v[10:11], v[20:23], off
	s_branch .LBB40_40
.LBB40_61:
	s_or_b64 exec, exec, s[22:23]
	v_cmp_lt_i32_e32 vcc, -1, v18
	s_and_saveexec_b64 s[12:13], vcc
	s_cbranch_execz .LBB40_83
; %bb.62:
	v_mov_b32_e32 v19, 0
	v_lshlrev_b64 v[5:6], 4, v[18:19]
	v_mov_b32_e32 v0, s17
	v_add_co_u32_e32 v9, vcc, s16, v5
	v_addc_co_u32_e32 v10, vcc, v0, v6, vcc
	global_load_dwordx4 v[5:8], v[9:10], off
                                        ; implicit-def: $vgpr20_vgpr21
	s_waitcnt vmcnt(0)
	v_cmp_gt_f64_e32 vcc, 0, v[5:6]
	v_xor_b32_e32 v0, 0x80000000, v6
	v_xor_b32_e32 v18, 0x80000000, v8
	v_mov_b32_e32 v11, v5
	v_cndmask_b32_e32 v12, v6, v0, vcc
	v_cmp_gt_f64_e32 vcc, 0, v[7:8]
	v_cndmask_b32_e32 v19, v8, v18, vcc
	v_mov_b32_e32 v18, v7
	v_cmp_ngt_f64_e32 vcc, v[11:12], v[18:19]
	s_and_saveexec_b64 s[8:9], vcc
	s_xor_b64 s[8:9], exec, s[8:9]
	s_cbranch_execz .LBB40_66
; %bb.63:
	v_cmp_neq_f64_e32 vcc, 0, v[7:8]
	v_mov_b32_e32 v20, 0
	v_mov_b32_e32 v21, 0
	s_and_saveexec_b64 s[14:15], vcc
	s_cbranch_execz .LBB40_65
; %bb.64:
	v_div_scale_f64 v[20:21], s[16:17], v[18:19], v[18:19], v[11:12]
	s_mov_b32 s16, 0
	s_brev_b32 s17, 8
	v_mov_b32_e32 v0, 0x100
	v_rcp_f64_e32 v[22:23], v[20:21]
	v_fma_f64 v[26:27], -v[20:21], v[22:23], 1.0
	v_fma_f64 v[22:23], v[22:23], v[26:27], v[22:23]
	v_div_scale_f64 v[26:27], vcc, v[11:12], v[18:19], v[11:12]
	v_fma_f64 v[28:29], -v[20:21], v[22:23], 1.0
	v_fma_f64 v[22:23], v[22:23], v[28:29], v[22:23]
	v_mul_f64 v[28:29], v[26:27], v[22:23]
	v_fma_f64 v[20:21], -v[20:21], v[28:29], v[26:27]
	v_div_fmas_f64 v[20:21], v[20:21], v[22:23], v[28:29]
	v_div_fixup_f64 v[11:12], v[20:21], v[18:19], v[11:12]
	v_fma_f64 v[11:12], v[11:12], v[11:12], 1.0
	v_cmp_gt_f64_e32 vcc, s[16:17], v[11:12]
	v_cndmask_b32_e32 v0, 0, v0, vcc
	v_ldexp_f64 v[11:12], v[11:12], v0
	v_mov_b32_e32 v0, 0xffffff80
	v_cndmask_b32_e32 v0, 0, v0, vcc
	v_rsq_f64_e32 v[20:21], v[11:12]
	v_mul_f64 v[22:23], v[11:12], v[20:21]
	v_mul_f64 v[20:21], v[20:21], 0.5
	v_fma_f64 v[26:27], -v[20:21], v[22:23], 0.5
	v_fma_f64 v[22:23], v[22:23], v[26:27], v[22:23]
	v_fma_f64 v[20:21], v[20:21], v[26:27], v[20:21]
	v_fma_f64 v[26:27], -v[22:23], v[22:23], v[11:12]
	v_fma_f64 v[22:23], v[26:27], v[20:21], v[22:23]
	v_fma_f64 v[26:27], -v[22:23], v[22:23], v[11:12]
	v_fma_f64 v[20:21], v[26:27], v[20:21], v[22:23]
	v_mov_b32_e32 v22, 0x260
	v_cmp_class_f64_e32 vcc, v[11:12], v22
	v_ldexp_f64 v[20:21], v[20:21], v0
	v_cndmask_b32_e32 v12, v21, v12, vcc
	v_cndmask_b32_e32 v11, v20, v11, vcc
	v_mul_f64 v[20:21], v[18:19], v[11:12]
.LBB40_65:
	s_or_b64 exec, exec, s[14:15]
                                        ; implicit-def: $vgpr11_vgpr12
                                        ; implicit-def: $vgpr18_vgpr19
.LBB40_66:
	s_andn2_saveexec_b64 s[8:9], s[8:9]
	s_cbranch_execz .LBB40_68
; %bb.67:
	v_div_scale_f64 v[20:21], s[14:15], v[11:12], v[11:12], v[18:19]
	s_mov_b32 s14, 0
	s_brev_b32 s15, 8
	v_mov_b32_e32 v0, 0x100
	v_rcp_f64_e32 v[22:23], v[20:21]
	v_fma_f64 v[26:27], -v[20:21], v[22:23], 1.0
	v_fma_f64 v[22:23], v[22:23], v[26:27], v[22:23]
	v_div_scale_f64 v[26:27], vcc, v[18:19], v[11:12], v[18:19]
	v_fma_f64 v[28:29], -v[20:21], v[22:23], 1.0
	v_fma_f64 v[22:23], v[22:23], v[28:29], v[22:23]
	v_mul_f64 v[28:29], v[26:27], v[22:23]
	v_fma_f64 v[20:21], -v[20:21], v[28:29], v[26:27]
	v_div_fmas_f64 v[20:21], v[20:21], v[22:23], v[28:29]
	v_div_fixup_f64 v[18:19], v[20:21], v[11:12], v[18:19]
	v_fma_f64 v[18:19], v[18:19], v[18:19], 1.0
	v_cmp_gt_f64_e32 vcc, s[14:15], v[18:19]
	v_cndmask_b32_e32 v0, 0, v0, vcc
	v_ldexp_f64 v[18:19], v[18:19], v0
	v_mov_b32_e32 v0, 0xffffff80
	v_cndmask_b32_e32 v0, 0, v0, vcc
	v_rsq_f64_e32 v[20:21], v[18:19]
	v_mul_f64 v[22:23], v[18:19], v[20:21]
	v_mul_f64 v[20:21], v[20:21], 0.5
	v_fma_f64 v[26:27], -v[20:21], v[22:23], 0.5
	v_fma_f64 v[22:23], v[22:23], v[26:27], v[22:23]
	v_fma_f64 v[20:21], v[20:21], v[26:27], v[20:21]
	v_fma_f64 v[26:27], -v[22:23], v[22:23], v[18:19]
	v_fma_f64 v[22:23], v[26:27], v[20:21], v[22:23]
	v_fma_f64 v[26:27], -v[22:23], v[22:23], v[18:19]
	v_fma_f64 v[20:21], v[26:27], v[20:21], v[22:23]
	v_mov_b32_e32 v22, 0x260
	v_cmp_class_f64_e32 vcc, v[18:19], v22
	v_ldexp_f64 v[20:21], v[20:21], v0
	v_cndmask_b32_e32 v19, v21, v19, vcc
	v_cndmask_b32_e32 v18, v20, v18, vcc
	v_mul_f64 v[20:21], v[11:12], v[18:19]
.LBB40_68:
	s_or_b64 exec, exec, s[8:9]
	v_cmp_eq_u32_e64 s[8:9], 0, v24
	s_and_b64 vcc, exec, s[6:7]
	s_mov_b64 s[6:7], -1
	s_cbranch_vccnz .LBB40_72
; %bb.69:
	v_cvt_f64_f32_e32 v[11:12], v25
	s_cmp_eq_u64 s[36:37], 8
	s_cselect_b64 vcc, -1, 0
	v_cndmask_b32_e32 v12, v12, v16, vcc
	v_cndmask_b32_e32 v11, v11, v15, vcc
	v_cmp_le_f64_e32 vcc, v[20:21], v[11:12]
	s_and_b64 s[14:15], s[8:9], vcc
	s_and_saveexec_b64 s[6:7], s[14:15]
	s_cbranch_execz .LBB40_71
; %bb.70:
	global_store_dwordx4 v[9:10], v[1:4], off
	s_waitcnt vmcnt(0)
	buffer_wbinvl1_vol
.LBB40_71:
	s_or_b64 exec, exec, s[6:7]
	s_mov_b64 s[6:7], 0
.LBB40_72:
	s_andn2_b64 vcc, exec, s[6:7]
	s_cbranch_vccnz .LBB40_83
; %bb.73:
	s_load_dwordx2 s[4:5], s[4:5], 0x48
	v_add_u32_e32 v0, s10, v17
	s_waitcnt lgkmcnt(0)
	v_cmp_ge_f64_e32 vcc, s[4:5], v[20:21]
	s_and_b64 s[6:7], s[8:9], vcc
	s_and_saveexec_b64 s[4:5], s[6:7]
	s_cbranch_execz .LBB40_78
; %bb.74:
	s_mov_b64 s[6:7], exec
	s_brev_b32 s10, -2
.LBB40_75:                              ; =>This Inner Loop Header: Depth=1
	s_ff1_i32_b64 s11, s[6:7]
	v_readlane_b32 s16, v0, s11
	s_lshl_b64 s[14:15], 1, s11
	s_min_i32 s10, s10, s16
	s_andn2_b64 s[6:7], s[6:7], s[14:15]
	s_cmp_lg_u64 s[6:7], 0
	s_cbranch_scc1 .LBB40_75
; %bb.76:
	v_mbcnt_lo_u32_b32 v1, exec_lo, 0
	v_mbcnt_hi_u32_b32 v1, exec_hi, v1
	v_cmp_eq_u32_e32 vcc, 0, v1
	s_and_saveexec_b64 s[6:7], vcc
	s_xor_b64 s[6:7], exec, s[6:7]
	s_cbranch_execz .LBB40_78
; %bb.77:
	v_mov_b32_e32 v1, 0
	v_mov_b32_e32 v2, s10
	global_atomic_smin v1, v2, s[26:27]
.LBB40_78:
	s_or_b64 exec, exec, s[4:5]
	v_cmp_eq_f64_e32 vcc, 0, v[5:6]
	v_cmp_eq_f64_e64 s[4:5], 0, v[7:8]
	s_and_b64 s[4:5], vcc, s[4:5]
	s_and_b64 s[4:5], s[8:9], s[4:5]
	s_and_b64 exec, exec, s[4:5]
	s_cbranch_execz .LBB40_83
; %bb.79:
	s_mov_b64 s[4:5], exec
	s_brev_b32 s6, -2
.LBB40_80:                              ; =>This Inner Loop Header: Depth=1
	s_ff1_i32_b64 s7, s[4:5]
	v_readlane_b32 s10, v0, s7
	s_lshl_b64 s[8:9], 1, s7
	s_min_i32 s6, s6, s10
	s_andn2_b64 s[4:5], s[4:5], s[8:9]
	s_cmp_lg_u64 s[4:5], 0
	s_cbranch_scc1 .LBB40_80
; %bb.81:
	v_mbcnt_lo_u32_b32 v0, exec_lo, 0
	v_mbcnt_hi_u32_b32 v0, exec_hi, v0
	v_cmp_eq_u32_e32 vcc, 0, v0
	s_and_saveexec_b64 s[4:5], vcc
	s_xor_b64 s[4:5], exec, s[4:5]
	s_cbranch_execz .LBB40_83
; %bb.82:
	v_mov_b32_e32 v0, 0
	v_mov_b32_e32 v1, s6
	global_atomic_smin v0, v1, s[24:25]
.LBB40_83:
	s_or_b64 exec, exec, s[12:13]
	v_cmp_eq_u32_e32 vcc, 0, v24
	s_waitcnt vmcnt(0)
	buffer_wbinvl1_vol
	s_and_b64 exec, exec, vcc
	s_cbranch_execz .LBB40_85
; %bb.84:
	v_mov_b32_e32 v1, s21
	v_add_co_u32_e32 v0, vcc, s20, v13
	v_addc_co_u32_e32 v1, vcc, v1, v14, vcc
	v_mov_b32_e32 v2, 1
	global_store_dword v[0:1], v2, off
.LBB40_85:
	s_endpgm
	.section	.rodata,"a",@progbits
	.p2align	6, 0x0
	.amdhsa_kernel _ZN9rocsparseL12csrilu0_hashILj256ELj32ELj1E21rocsparse_complex_numIdEEEviPKiS4_PT2_S4_PiS4_S7_S7_d21rocsparse_index_base_imNS_24const_host_device_scalarIfEENS9_IdEENS9_IS5_EEb
		.amdhsa_group_segment_fixed_size 2048
		.amdhsa_private_segment_fixed_size 16
		.amdhsa_kernarg_size 132
		.amdhsa_user_sgpr_count 8
		.amdhsa_user_sgpr_private_segment_buffer 1
		.amdhsa_user_sgpr_dispatch_ptr 0
		.amdhsa_user_sgpr_queue_ptr 0
		.amdhsa_user_sgpr_kernarg_segment_ptr 1
		.amdhsa_user_sgpr_dispatch_id 0
		.amdhsa_user_sgpr_flat_scratch_init 1
		.amdhsa_user_sgpr_private_segment_size 0
		.amdhsa_uses_dynamic_stack 0
		.amdhsa_system_sgpr_private_segment_wavefront_offset 1
		.amdhsa_system_sgpr_workgroup_id_x 1
		.amdhsa_system_sgpr_workgroup_id_y 0
		.amdhsa_system_sgpr_workgroup_id_z 0
		.amdhsa_system_sgpr_workgroup_info 0
		.amdhsa_system_vgpr_workitem_id 0
		.amdhsa_next_free_vgpr 44
		.amdhsa_next_free_sgpr 66
		.amdhsa_reserve_vcc 1
		.amdhsa_reserve_flat_scratch 1
		.amdhsa_float_round_mode_32 0
		.amdhsa_float_round_mode_16_64 0
		.amdhsa_float_denorm_mode_32 3
		.amdhsa_float_denorm_mode_16_64 3
		.amdhsa_dx10_clamp 1
		.amdhsa_ieee_mode 1
		.amdhsa_fp16_overflow 0
		.amdhsa_exception_fp_ieee_invalid_op 0
		.amdhsa_exception_fp_denorm_src 0
		.amdhsa_exception_fp_ieee_div_zero 0
		.amdhsa_exception_fp_ieee_overflow 0
		.amdhsa_exception_fp_ieee_underflow 0
		.amdhsa_exception_fp_ieee_inexact 0
		.amdhsa_exception_int_div_zero 0
	.end_amdhsa_kernel
	.section	.text._ZN9rocsparseL12csrilu0_hashILj256ELj32ELj1E21rocsparse_complex_numIdEEEviPKiS4_PT2_S4_PiS4_S7_S7_d21rocsparse_index_base_imNS_24const_host_device_scalarIfEENS9_IdEENS9_IS5_EEb,"axG",@progbits,_ZN9rocsparseL12csrilu0_hashILj256ELj32ELj1E21rocsparse_complex_numIdEEEviPKiS4_PT2_S4_PiS4_S7_S7_d21rocsparse_index_base_imNS_24const_host_device_scalarIfEENS9_IdEENS9_IS5_EEb,comdat
.Lfunc_end40:
	.size	_ZN9rocsparseL12csrilu0_hashILj256ELj32ELj1E21rocsparse_complex_numIdEEEviPKiS4_PT2_S4_PiS4_S7_S7_d21rocsparse_index_base_imNS_24const_host_device_scalarIfEENS9_IdEENS9_IS5_EEb, .Lfunc_end40-_ZN9rocsparseL12csrilu0_hashILj256ELj32ELj1E21rocsparse_complex_numIdEEEviPKiS4_PT2_S4_PiS4_S7_S7_d21rocsparse_index_base_imNS_24const_host_device_scalarIfEENS9_IdEENS9_IS5_EEb
                                        ; -- End function
	.set _ZN9rocsparseL12csrilu0_hashILj256ELj32ELj1E21rocsparse_complex_numIdEEEviPKiS4_PT2_S4_PiS4_S7_S7_d21rocsparse_index_base_imNS_24const_host_device_scalarIfEENS9_IdEENS9_IS5_EEb.num_vgpr, 44
	.set _ZN9rocsparseL12csrilu0_hashILj256ELj32ELj1E21rocsparse_complex_numIdEEEviPKiS4_PT2_S4_PiS4_S7_S7_d21rocsparse_index_base_imNS_24const_host_device_scalarIfEENS9_IdEENS9_IS5_EEb.num_agpr, 0
	.set _ZN9rocsparseL12csrilu0_hashILj256ELj32ELj1E21rocsparse_complex_numIdEEEviPKiS4_PT2_S4_PiS4_S7_S7_d21rocsparse_index_base_imNS_24const_host_device_scalarIfEENS9_IdEENS9_IS5_EEb.numbered_sgpr, 66
	.set _ZN9rocsparseL12csrilu0_hashILj256ELj32ELj1E21rocsparse_complex_numIdEEEviPKiS4_PT2_S4_PiS4_S7_S7_d21rocsparse_index_base_imNS_24const_host_device_scalarIfEENS9_IdEENS9_IS5_EEb.num_named_barrier, 0
	.set _ZN9rocsparseL12csrilu0_hashILj256ELj32ELj1E21rocsparse_complex_numIdEEEviPKiS4_PT2_S4_PiS4_S7_S7_d21rocsparse_index_base_imNS_24const_host_device_scalarIfEENS9_IdEENS9_IS5_EEb.private_seg_size, 16
	.set _ZN9rocsparseL12csrilu0_hashILj256ELj32ELj1E21rocsparse_complex_numIdEEEviPKiS4_PT2_S4_PiS4_S7_S7_d21rocsparse_index_base_imNS_24const_host_device_scalarIfEENS9_IdEENS9_IS5_EEb.uses_vcc, 1
	.set _ZN9rocsparseL12csrilu0_hashILj256ELj32ELj1E21rocsparse_complex_numIdEEEviPKiS4_PT2_S4_PiS4_S7_S7_d21rocsparse_index_base_imNS_24const_host_device_scalarIfEENS9_IdEENS9_IS5_EEb.uses_flat_scratch, 1
	.set _ZN9rocsparseL12csrilu0_hashILj256ELj32ELj1E21rocsparse_complex_numIdEEEviPKiS4_PT2_S4_PiS4_S7_S7_d21rocsparse_index_base_imNS_24const_host_device_scalarIfEENS9_IdEENS9_IS5_EEb.has_dyn_sized_stack, 0
	.set _ZN9rocsparseL12csrilu0_hashILj256ELj32ELj1E21rocsparse_complex_numIdEEEviPKiS4_PT2_S4_PiS4_S7_S7_d21rocsparse_index_base_imNS_24const_host_device_scalarIfEENS9_IdEENS9_IS5_EEb.has_recursion, 0
	.set _ZN9rocsparseL12csrilu0_hashILj256ELj32ELj1E21rocsparse_complex_numIdEEEviPKiS4_PT2_S4_PiS4_S7_S7_d21rocsparse_index_base_imNS_24const_host_device_scalarIfEENS9_IdEENS9_IS5_EEb.has_indirect_call, 0
	.section	.AMDGPU.csdata,"",@progbits
; Kernel info:
; codeLenInByte = 3300
; TotalNumSgprs: 72
; NumVgprs: 44
; ScratchSize: 16
; MemoryBound: 0
; FloatMode: 240
; IeeeMode: 1
; LDSByteSize: 2048 bytes/workgroup (compile time only)
; SGPRBlocks: 8
; VGPRBlocks: 10
; NumSGPRsForWavesPerEU: 72
; NumVGPRsForWavesPerEU: 44
; Occupancy: 5
; WaveLimiterHint : 1
; COMPUTE_PGM_RSRC2:SCRATCH_EN: 1
; COMPUTE_PGM_RSRC2:USER_SGPR: 8
; COMPUTE_PGM_RSRC2:TRAP_HANDLER: 0
; COMPUTE_PGM_RSRC2:TGID_X_EN: 1
; COMPUTE_PGM_RSRC2:TGID_Y_EN: 0
; COMPUTE_PGM_RSRC2:TGID_Z_EN: 0
; COMPUTE_PGM_RSRC2:TIDIG_COMP_CNT: 0
	.section	.text._ZN9rocsparseL12csrilu0_hashILj256ELj32ELj2E21rocsparse_complex_numIdEEEviPKiS4_PT2_S4_PiS4_S7_S7_d21rocsparse_index_base_imNS_24const_host_device_scalarIfEENS9_IdEENS9_IS5_EEb,"axG",@progbits,_ZN9rocsparseL12csrilu0_hashILj256ELj32ELj2E21rocsparse_complex_numIdEEEviPKiS4_PT2_S4_PiS4_S7_S7_d21rocsparse_index_base_imNS_24const_host_device_scalarIfEENS9_IdEENS9_IS5_EEb,comdat
	.globl	_ZN9rocsparseL12csrilu0_hashILj256ELj32ELj2E21rocsparse_complex_numIdEEEviPKiS4_PT2_S4_PiS4_S7_S7_d21rocsparse_index_base_imNS_24const_host_device_scalarIfEENS9_IdEENS9_IS5_EEb ; -- Begin function _ZN9rocsparseL12csrilu0_hashILj256ELj32ELj2E21rocsparse_complex_numIdEEEviPKiS4_PT2_S4_PiS4_S7_S7_d21rocsparse_index_base_imNS_24const_host_device_scalarIfEENS9_IdEENS9_IS5_EEb
	.p2align	8
	.type	_ZN9rocsparseL12csrilu0_hashILj256ELj32ELj2E21rocsparse_complex_numIdEEEviPKiS4_PT2_S4_PiS4_S7_S7_d21rocsparse_index_base_imNS_24const_host_device_scalarIfEENS9_IdEENS9_IS5_EEb,@function
_ZN9rocsparseL12csrilu0_hashILj256ELj32ELj2E21rocsparse_complex_numIdEEEviPKiS4_PT2_S4_PiS4_S7_S7_d21rocsparse_index_base_imNS_24const_host_device_scalarIfEENS9_IdEENS9_IS5_EEb: ; @_ZN9rocsparseL12csrilu0_hashILj256ELj32ELj2E21rocsparse_complex_numIdEEEviPKiS4_PT2_S4_PiS4_S7_S7_d21rocsparse_index_base_imNS_24const_host_device_scalarIfEENS9_IdEENS9_IS5_EEb
; %bb.0:
	s_add_u32 flat_scratch_lo, s6, s9
	s_load_dword s6, s[4:5], 0x80
	s_load_dwordx8 s[36:43], s[4:5], 0x58
	s_load_dwordx2 s[12:13], s[4:5], 0x78
	s_load_dwordx2 s[10:11], s[4:5], 0x50
	s_addc_u32 flat_scratch_hi, s7, 0
	s_add_u32 s0, s0, s9
	s_addc_u32 s1, s1, 0
	s_waitcnt lgkmcnt(0)
	s_bitcmp1_b32 s6, 0
	s_cselect_b64 s[14:15], -1, 0
	s_cmp_eq_u32 s11, 0
	s_cselect_b64 s[20:21], -1, 0
	s_cmp_lg_u32 s11, 0
	s_cselect_b64 s[16:17], -1, 0
	s_or_b64 s[22:23], s[20:21], s[14:15]
	s_xor_b64 s[6:7], s[22:23], -1
	v_mov_b32_e32 v1, s43
	s_and_b64 s[18:19], s[20:21], exec
	buffer_store_dword v1, off, s[0:3], 0 offset:4
	v_mov_b32_e32 v1, s42
	s_cselect_b32 s19, 0, s41
	s_cselect_b32 s18, 0, s40
	s_and_b64 vcc, exec, s[22:23]
	buffer_store_dword v1, off, s[0:3], 0
	s_cbranch_vccnz .LBB41_2
; %bb.1:
	s_load_dword s9, s[38:39], 0x0
	s_mov_b64 s[18:19], s[40:41]
	s_waitcnt lgkmcnt(0)
	v_mov_b32_e32 v25, s9
	v_mov_b32_e32 v15, s18
	s_andn2_b64 vcc, exec, s[6:7]
	v_mov_b32_e32 v16, s19
	s_cbranch_vccz .LBB41_3
	s_branch .LBB41_4
.LBB41_2:
	v_mov_b32_e32 v1, s38
	v_cndmask_b32_e64 v25, v1, 0, s[20:21]
	v_mov_b32_e32 v15, s18
	s_andn2_b64 vcc, exec, s[6:7]
	v_mov_b32_e32 v16, s19
	s_cbranch_vccnz .LBB41_4
.LBB41_3:
	v_mov_b32_e32 v1, s40
	v_mov_b32_e32 v2, s41
	flat_load_dwordx2 v[15:16], v[1:2]
.LBB41_4:
	v_cndmask_b32_e64 v1, 0, 1, s[16:17]
	v_mov_b32_e32 v3, 0
	v_cmp_ne_u32_e64 s[6:7], 1, v1
	v_mov_b32_e32 v1, 0
	v_mov_b32_e32 v4, 0
	s_andn2_b64 vcc, exec, s[16:17]
	v_mov_b32_e32 v2, 0
	s_cbranch_vccnz .LBB41_7
; %bb.5:
	s_xor_b64 s[18:19], s[14:15], -1
	s_mov_b64 s[16:17], src_private_base
	s_and_b64 s[14:15], s[14:15], exec
	s_cselect_b32 s9, s17, s43
	s_cselect_b32 s11, 0, s42
	v_mov_b32_e32 v1, s11
	v_mov_b32_e32 v2, s9
	flat_load_dwordx2 v[1:2], v[1:2]
	v_mov_b32_e32 v3, s12
	s_andn2_b64 vcc, exec, s[18:19]
	v_mov_b32_e32 v4, s13
	s_cbranch_vccnz .LBB41_7
; %bb.6:
	v_mov_b32_e32 v3, s42
	v_mov_b32_e32 v4, s43
	flat_load_dwordx2 v[3:4], v[3:4] offset:8
.LBB41_7:
	v_and_b32_e32 v24, 31, v0
	v_lshrrev_b32_e32 v5, 5, v0
	v_lshlrev_b32_e32 v7, 8, v5
	v_lshlrev_b32_e32 v8, 2, v24
	s_movk_i32 s9, 0x800
	v_or_b32_e32 v6, 0xffffffe0, v24
	v_or3_b32 v7, v7, v8, s9
	s_mov_b64 s[12:13], 0
	v_mov_b32_e32 v8, -1
.LBB41_8:                               ; =>This Inner Loop Header: Depth=1
	v_add_co_u32_e32 v6, vcc, 32, v6
	s_xor_b64 s[14:15], vcc, -1
	s_and_b64 s[14:15], exec, s[14:15]
	ds_write_b32 v7, v8
	s_or_b64 s[12:13], s[14:15], s[12:13]
	v_add_u32_e32 v7, 0x80, v7
	s_andn2_b64 exec, exec, s[12:13]
	s_cbranch_execnz .LBB41_8
; %bb.9:
	s_or_b64 exec, exec, s[12:13]
	s_load_dword s9, s[4:5], 0x0
	s_lshl_b32 s8, s8, 3
	s_and_b32 s8, s8, 0x7fffff8
	v_or_b32_e32 v5, s8, v5
	s_waitcnt lgkmcnt(0)
	v_cmp_gt_i32_e32 vcc, s9, v5
	s_and_saveexec_b64 s[8:9], vcc
	s_cbranch_execz .LBB41_87
; %bb.10:
	s_load_dwordx16 s[12:27], s[4:5], 0x8
	v_lshlrev_b32_e32 v5, 2, v5
	v_lshlrev_b32_e32 v0, 3, v0
	v_and_b32_e32 v0, 0x700, v0
	v_or_b32_e32 v26, 0x800, v0
	s_waitcnt lgkmcnt(0)
	global_load_dword v17, v5, s[22:23]
	v_mov_b32_e32 v6, s13
	v_mov_b32_e32 v8, s19
	s_waitcnt vmcnt(0)
	v_ashrrev_i32_e32 v18, 31, v17
	v_lshlrev_b64 v[13:14], 2, v[17:18]
	v_add_co_u32_e32 v5, vcc, s12, v13
	v_addc_co_u32_e32 v6, vcc, v6, v14, vcc
	global_load_dwordx2 v[5:6], v[5:6], off
	v_add_co_u32_e32 v7, vcc, s18, v13
	v_addc_co_u32_e32 v8, vcc, v8, v14, vcc
	global_load_dword v18, v[7:8], off
	s_waitcnt vmcnt(1)
	v_subrev_u32_e32 v19, s10, v5
	v_subrev_u32_e32 v7, s10, v6
	v_add_u32_e32 v5, v19, v24
	v_cmp_lt_i32_e32 vcc, v5, v7
	s_and_saveexec_b64 s[8:9], vcc
	s_cbranch_execz .LBB41_33
; %bb.11:
	s_mov_b64 s[22:23], 0
	v_mov_b32_e32 v8, s15
	v_mov_b32_e32 v9, -1
	s_branch .LBB41_13
.LBB41_12:                              ;   in Loop: Header=BB41_13 Depth=1
	s_or_b64 exec, exec, s[28:29]
	v_add_u32_e32 v5, 32, v5
	v_cmp_ge_i32_e32 vcc, v5, v7
	s_or_b64 s[22:23], vcc, s[22:23]
	s_andn2_b64 exec, exec, s[22:23]
	s_cbranch_execz .LBB41_33
.LBB41_13:                              ; =>This Loop Header: Depth=1
                                        ;     Child Loop BB41_22 Depth 2
	v_ashrrev_i32_e32 v6, 31, v5
	v_lshlrev_b64 v[10:11], 2, v[5:6]
	s_mov_b64 s[30:31], 0
	v_add_co_u32_e32 v10, vcc, s14, v10
	v_addc_co_u32_e32 v11, vcc, v8, v11, vcc
	global_load_dword v6, v[10:11], off
	v_mov_b32_e32 v10, 64
                                        ; implicit-def: $sgpr28_sgpr29
                                        ; implicit-def: $sgpr34_sgpr35
                                        ; implicit-def: $sgpr38_sgpr39
	s_waitcnt vmcnt(0)
	v_mul_lo_u32 v12, v6, 39
	s_branch .LBB41_22
.LBB41_14:                              ;   in Loop: Header=BB41_22 Depth=2
	s_or_b64 exec, exec, s[58:59]
	s_orn2_b64 s[54:55], s[54:55], exec
	s_orn2_b64 s[56:57], s[56:57], exec
.LBB41_15:                              ;   in Loop: Header=BB41_22 Depth=2
	s_or_b64 exec, exec, s[52:53]
	s_and_b64 s[54:55], s[54:55], exec
	s_orn2_b64 s[52:53], s[56:57], exec
.LBB41_16:                              ;   in Loop: Header=BB41_22 Depth=2
	s_or_b64 exec, exec, s[50:51]
	s_orn2_b64 s[54:55], s[54:55], exec
	s_orn2_b64 s[50:51], s[52:53], exec
.LBB41_17:                              ;   in Loop: Header=BB41_22 Depth=2
	s_or_b64 exec, exec, s[48:49]
	s_and_b64 s[52:53], s[54:55], exec
	s_orn2_b64 s[48:49], s[50:51], exec
.LBB41_18:                              ;   in Loop: Header=BB41_22 Depth=2
	s_or_b64 exec, exec, s[46:47]
	s_orn2_b64 s[46:47], s[52:53], exec
	s_orn2_b64 s[48:49], s[48:49], exec
.LBB41_19:                              ;   in Loop: Header=BB41_22 Depth=2
	s_or_b64 exec, exec, s[44:45]
	s_and_b64 s[46:47], s[46:47], exec
	s_orn2_b64 s[44:45], s[48:49], exec
.LBB41_20:                              ;   in Loop: Header=BB41_22 Depth=2
	s_or_b64 exec, exec, s[42:43]
	s_andn2_b64 s[38:39], s[38:39], exec
	s_and_b64 s[42:43], s[46:47], exec
	s_or_b64 s[38:39], s[38:39], s[42:43]
	s_andn2_b64 s[34:35], s[34:35], exec
	s_and_b64 s[42:43], s[44:45], exec
	s_or_b64 s[34:35], s[34:35], s[42:43]
.LBB41_21:                              ;   in Loop: Header=BB41_22 Depth=2
	s_or_b64 exec, exec, s[40:41]
	s_and_b64 s[40:41], exec, s[34:35]
	s_or_b64 s[30:31], s[40:41], s[30:31]
	s_andn2_b64 s[28:29], s[28:29], exec
	s_and_b64 s[40:41], s[38:39], exec
	s_or_b64 s[28:29], s[28:29], s[40:41]
	s_andn2_b64 exec, exec, s[30:31]
	s_cbranch_execz .LBB41_31
.LBB41_22:                              ;   Parent Loop BB41_13 Depth=1
                                        ; =>  This Inner Loop Header: Depth=2
	v_and_b32_e32 v11, 63, v12
	v_lshl_add_u32 v20, v11, 2, v26
	ds_read_b32 v21, v20
	s_or_b64 s[38:39], s[38:39], exec
	s_or_b64 s[34:35], s[34:35], exec
	s_waitcnt lgkmcnt(0)
	v_cmp_ne_u32_e32 vcc, v21, v6
	s_and_saveexec_b64 s[40:41], vcc
	s_cbranch_execz .LBB41_21
; %bb.23:                               ;   in Loop: Header=BB41_22 Depth=2
	ds_cmpst_rtn_b32 v20, v20, v9, v6
	s_mov_b64 s[44:45], -1
	s_mov_b64 s[46:47], 0
	s_waitcnt lgkmcnt(0)
	v_cmp_ne_u32_e32 vcc, -1, v20
	s_and_saveexec_b64 s[42:43], vcc
	s_cbranch_execz .LBB41_20
; %bb.24:                               ;   in Loop: Header=BB41_22 Depth=2
	v_add_u32_e32 v11, 1, v12
	v_and_b32_e32 v11, 63, v11
	v_lshl_add_u32 v20, v11, 2, v26
	ds_read_b32 v21, v20
	s_mov_b64 s[48:49], -1
	s_mov_b64 s[46:47], -1
	s_waitcnt lgkmcnt(0)
	v_cmp_ne_u32_e32 vcc, v21, v6
	s_and_saveexec_b64 s[44:45], vcc
	s_cbranch_execz .LBB41_19
; %bb.25:                               ;   in Loop: Header=BB41_22 Depth=2
	ds_cmpst_rtn_b32 v20, v20, v9, v6
	s_mov_b64 s[52:53], 0
	s_waitcnt lgkmcnt(0)
	v_cmp_ne_u32_e32 vcc, -1, v20
	s_and_saveexec_b64 s[46:47], vcc
	s_cbranch_execz .LBB41_18
; %bb.26:                               ;   in Loop: Header=BB41_22 Depth=2
	v_add_u32_e32 v11, 2, v12
	v_and_b32_e32 v11, 63, v11
	v_lshl_add_u32 v20, v11, 2, v26
	ds_read_b32 v21, v20
	s_mov_b64 s[50:51], -1
	s_mov_b64 s[54:55], -1
	s_waitcnt lgkmcnt(0)
	v_cmp_ne_u32_e32 vcc, v21, v6
	s_and_saveexec_b64 s[48:49], vcc
	s_cbranch_execz .LBB41_17
; %bb.27:                               ;   in Loop: Header=BB41_22 Depth=2
	ds_cmpst_rtn_b32 v20, v20, v9, v6
	s_mov_b64 s[52:53], -1
	s_mov_b64 s[54:55], 0
	s_waitcnt lgkmcnt(0)
	v_cmp_ne_u32_e32 vcc, -1, v20
	s_and_saveexec_b64 s[50:51], vcc
	s_cbranch_execz .LBB41_16
; %bb.28:                               ;   in Loop: Header=BB41_22 Depth=2
	v_add_u32_e32 v11, 3, v12
	v_and_b32_e32 v11, 63, v11
	v_lshl_add_u32 v20, v11, 2, v26
	ds_read_b32 v12, v20
	s_mov_b64 s[56:57], -1
	s_mov_b64 s[54:55], -1
	s_waitcnt lgkmcnt(0)
	v_cmp_ne_u32_e32 vcc, v12, v6
                                        ; implicit-def: $vgpr12
	s_and_saveexec_b64 s[52:53], vcc
	s_cbranch_execz .LBB41_15
; %bb.29:                               ;   in Loop: Header=BB41_22 Depth=2
	ds_cmpst_rtn_b32 v12, v20, v9, v6
	s_mov_b64 s[54:55], 0
	s_waitcnt lgkmcnt(0)
	v_cmp_ne_u32_e32 vcc, -1, v12
                                        ; implicit-def: $vgpr12
	s_and_saveexec_b64 s[58:59], vcc
	s_cbranch_execz .LBB41_14
; %bb.30:                               ;   in Loop: Header=BB41_22 Depth=2
	v_add_u32_e32 v10, -4, v10
	v_cmp_eq_u32_e32 vcc, 0, v10
	s_mov_b64 s[54:55], exec
	v_add_u32_e32 v12, 1, v11
	s_orn2_b64 s[56:57], vcc, exec
	s_branch .LBB41_14
.LBB41_31:                              ;   in Loop: Header=BB41_13 Depth=1
	s_or_b64 exec, exec, s[30:31]
	s_xor_b64 s[28:29], s[28:29], -1
	s_and_saveexec_b64 s[30:31], s[28:29]
	s_xor_b64 s[28:29], exec, s[30:31]
	s_cbranch_execz .LBB41_12
; %bb.32:                               ;   in Loop: Header=BB41_13 Depth=1
	v_lshl_add_u32 v6, v11, 2, v0
	ds_write_b32 v6, v5
	s_branch .LBB41_12
.LBB41_33:
	s_or_b64 exec, exec, s[8:9]
	s_waitcnt vmcnt(0)
	v_cmp_lt_i32_e32 vcc, v19, v18
	s_waitcnt lgkmcnt(0)
	s_and_saveexec_b64 s[22:23], vcc
	s_cbranch_execz .LBB41_63
; %bb.34:
	v_add_u32_e32 v27, 1, v24
	s_mov_b64 s[28:29], 0
	v_mov_b32_e32 v28, s15
	v_mov_b32_e32 v29, s17
	;; [unrolled: 1-line block ×5, first 2 shown]
	s_branch .LBB41_37
.LBB41_35:                              ;   in Loop: Header=BB41_37 Depth=1
	s_or_b64 exec, exec, s[30:31]
	v_add_u32_e32 v19, 1, v19
	v_cmp_ge_i32_e32 vcc, v19, v18
	s_orn2_b64 s[30:31], vcc, exec
.LBB41_36:                              ;   in Loop: Header=BB41_37 Depth=1
	s_or_b64 exec, exec, s[8:9]
	s_and_b64 s[8:9], exec, s[30:31]
	s_or_b64 s[28:29], s[8:9], s[28:29]
	s_andn2_b64 exec, exec, s[28:29]
	s_cbranch_execz .LBB41_63
.LBB41_37:                              ; =>This Loop Header: Depth=1
                                        ;     Child Loop BB41_38 Depth 2
                                        ;     Child Loop BB41_43 Depth 2
                                        ;       Child Loop BB41_52 Depth 3
	v_ashrrev_i32_e32 v20, 31, v19
	v_lshlrev_b64 v[5:6], 2, v[19:20]
	s_mov_b64 s[8:9], 0
	v_add_co_u32_e32 v5, vcc, s14, v5
	v_addc_co_u32_e32 v6, vcc, v28, v6, vcc
	global_load_dword v9, v[5:6], off
	v_lshlrev_b64 v[5:6], 4, v[19:20]
	v_add_co_u32_e32 v20, vcc, s16, v5
	v_addc_co_u32_e32 v21, vcc, v29, v6, vcc
	global_load_dwordx4 v[5:8], v[20:21], off
	s_waitcnt vmcnt(1)
	v_subrev_u32_e32 v9, s10, v9
	v_ashrrev_i32_e32 v10, 31, v9
	v_lshlrev_b64 v[9:10], 2, v[9:10]
	v_add_co_u32_e32 v22, vcc, s12, v9
	v_addc_co_u32_e32 v23, vcc, v30, v10, vcc
	v_add_co_u32_e32 v33, vcc, s18, v9
	v_addc_co_u32_e32 v34, vcc, v31, v10, vcc
	global_load_dword v11, v[22:23], off offset:4
	global_load_dword v12, v[33:34], off
	v_add_co_u32_e32 v9, vcc, s20, v9
	v_addc_co_u32_e32 v10, vcc, v32, v10, vcc
.LBB41_38:                              ;   Parent Loop BB41_37 Depth=1
                                        ; =>  This Inner Loop Header: Depth=2
	global_load_dword v22, v[9:10], off glc
	s_waitcnt vmcnt(0)
	v_cmp_ne_u32_e32 vcc, 0, v22
	s_or_b64 s[8:9], vcc, s[8:9]
	s_andn2_b64 exec, exec, s[8:9]
	s_cbranch_execnz .LBB41_38
; %bb.39:                               ;   in Loop: Header=BB41_37 Depth=1
	s_or_b64 exec, exec, s[8:9]
	v_subrev_u32_e32 v33, s10, v11
	v_add_u32_e32 v9, -1, v33
	v_cmp_eq_u32_e32 vcc, -1, v12
	v_cndmask_b32_e32 v22, v12, v9, vcc
	v_ashrrev_i32_e32 v23, 31, v22
	v_lshlrev_b64 v[9:10], 4, v[22:23]
	buffer_wbinvl1_vol
	v_add_co_u32_e32 v9, vcc, s16, v9
	v_addc_co_u32_e32 v10, vcc, v29, v10, vcc
	global_load_dwordx4 v[9:12], v[9:10], off
	s_mov_b64 s[30:31], -1
	s_waitcnt vmcnt(0)
	v_cmp_neq_f64_e32 vcc, 0, v[9:10]
	v_cmp_neq_f64_e64 s[8:9], 0, v[11:12]
	s_or_b64 s[34:35], vcc, s[8:9]
	s_and_saveexec_b64 s[8:9], s[34:35]
	s_cbranch_execz .LBB41_36
; %bb.40:                               ;   in Loop: Header=BB41_37 Depth=1
	v_mul_f64 v[34:35], v[11:12], v[11:12]
	v_fma_f64 v[34:35], v[9:10], v[9:10], v[34:35]
	v_div_scale_f64 v[36:37], s[30:31], v[34:35], v[34:35], 1.0
	v_rcp_f64_e32 v[38:39], v[36:37]
	v_fma_f64 v[40:41], -v[36:37], v[38:39], 1.0
	v_fma_f64 v[38:39], v[38:39], v[40:41], v[38:39]
	v_div_scale_f64 v[40:41], vcc, 1.0, v[34:35], 1.0
	v_fma_f64 v[42:43], -v[36:37], v[38:39], 1.0
	v_fma_f64 v[38:39], v[38:39], v[42:43], v[38:39]
	v_mul_f64 v[42:43], v[40:41], v[38:39]
	v_fma_f64 v[36:37], -v[36:37], v[42:43], v[40:41]
	v_div_fmas_f64 v[36:37], v[36:37], v[38:39], v[42:43]
	v_mul_f64 v[38:39], v[7:8], v[11:12]
	v_mul_f64 v[11:12], v[11:12], -v[5:6]
	v_fma_f64 v[5:6], v[5:6], v[9:10], v[38:39]
	v_fma_f64 v[7:8], v[7:8], v[9:10], v[11:12]
	v_add_u32_e32 v9, v27, v22
	v_cmp_lt_i32_e32 vcc, v9, v33
	v_div_fixup_f64 v[34:35], v[36:37], v[34:35], 1.0
	v_mul_f64 v[5:6], v[5:6], v[34:35]
	v_mul_f64 v[7:8], v[7:8], v[34:35]
	global_store_dwordx4 v[20:21], v[5:8], off
	s_and_saveexec_b64 s[30:31], vcc
	s_cbranch_execz .LBB41_35
; %bb.41:                               ;   in Loop: Header=BB41_37 Depth=1
	s_mov_b64 s[34:35], 0
	s_branch .LBB41_43
.LBB41_42:                              ;   in Loop: Header=BB41_43 Depth=2
	s_or_b64 exec, exec, s[38:39]
	v_add_u32_e32 v9, 32, v9
	v_cmp_ge_i32_e32 vcc, v9, v33
	s_or_b64 s[34:35], vcc, s[34:35]
	s_andn2_b64 exec, exec, s[34:35]
	s_cbranch_execz .LBB41_35
.LBB41_43:                              ;   Parent Loop BB41_37 Depth=1
                                        ; =>  This Loop Header: Depth=2
                                        ;       Child Loop BB41_52 Depth 3
	v_ashrrev_i32_e32 v10, 31, v9
	v_lshlrev_b64 v[11:12], 2, v[9:10]
	v_mov_b32_e32 v20, s15
	v_add_co_u32_e32 v11, vcc, s14, v11
	v_addc_co_u32_e32 v12, vcc, v20, v12, vcc
	global_load_dword v11, v[11:12], off
	v_mov_b32_e32 v12, 64
	s_mov_b64 s[40:41], 0
                                        ; implicit-def: $sgpr38_sgpr39
                                        ; implicit-def: $sgpr42_sgpr43
                                        ; implicit-def: $sgpr44_sgpr45
	s_waitcnt vmcnt(0)
	v_mul_lo_u32 v21, v11, 39
	s_branch .LBB41_52
.LBB41_44:                              ;   in Loop: Header=BB41_52 Depth=3
	s_or_b64 exec, exec, s[64:65]
	s_orn2_b64 s[60:61], s[60:61], exec
	s_orn2_b64 s[62:63], s[62:63], exec
.LBB41_45:                              ;   in Loop: Header=BB41_52 Depth=3
	s_or_b64 exec, exec, s[58:59]
	s_and_b64 s[60:61], s[60:61], exec
	s_orn2_b64 s[58:59], s[62:63], exec
.LBB41_46:                              ;   in Loop: Header=BB41_52 Depth=3
	s_or_b64 exec, exec, s[56:57]
	s_orn2_b64 s[60:61], s[60:61], exec
	s_orn2_b64 s[56:57], s[58:59], exec
.LBB41_47:                              ;   in Loop: Header=BB41_52 Depth=3
	s_or_b64 exec, exec, s[54:55]
	s_and_b64 s[58:59], s[60:61], exec
	s_orn2_b64 s[54:55], s[56:57], exec
.LBB41_48:                              ;   in Loop: Header=BB41_52 Depth=3
	s_or_b64 exec, exec, s[52:53]
	s_orn2_b64 s[52:53], s[58:59], exec
	s_orn2_b64 s[54:55], s[54:55], exec
.LBB41_49:                              ;   in Loop: Header=BB41_52 Depth=3
	s_or_b64 exec, exec, s[50:51]
	s_and_b64 s[52:53], s[52:53], exec
	s_orn2_b64 s[50:51], s[54:55], exec
.LBB41_50:                              ;   in Loop: Header=BB41_52 Depth=3
	s_or_b64 exec, exec, s[48:49]
	s_andn2_b64 s[44:45], s[44:45], exec
	s_and_b64 s[48:49], s[52:53], exec
	s_or_b64 s[44:45], s[44:45], s[48:49]
	s_andn2_b64 s[42:43], s[42:43], exec
	s_and_b64 s[48:49], s[50:51], exec
	s_or_b64 s[42:43], s[42:43], s[48:49]
.LBB41_51:                              ;   in Loop: Header=BB41_52 Depth=3
	s_or_b64 exec, exec, s[46:47]
	s_and_b64 s[46:47], exec, s[42:43]
	s_or_b64 s[40:41], s[46:47], s[40:41]
	s_andn2_b64 s[38:39], s[38:39], exec
	s_and_b64 s[46:47], s[44:45], exec
	s_or_b64 s[38:39], s[38:39], s[46:47]
	s_andn2_b64 exec, exec, s[40:41]
	s_cbranch_execz .LBB41_61
.LBB41_52:                              ;   Parent Loop BB41_37 Depth=1
                                        ;     Parent Loop BB41_43 Depth=2
                                        ; =>    This Inner Loop Header: Depth=3
	v_and_b32_e32 v20, 63, v21
	v_lshl_add_u32 v22, v20, 2, v26
	ds_read_b32 v22, v22
	s_or_b64 s[44:45], s[44:45], exec
	s_or_b64 s[42:43], s[42:43], exec
	s_waitcnt lgkmcnt(0)
	v_cmp_ne_u32_e32 vcc, -1, v22
	s_and_saveexec_b64 s[46:47], vcc
	s_cbranch_execz .LBB41_51
; %bb.53:                               ;   in Loop: Header=BB41_52 Depth=3
	v_cmp_ne_u32_e32 vcc, v22, v11
	s_mov_b64 s[50:51], -1
	s_mov_b64 s[52:53], 0
	s_and_saveexec_b64 s[48:49], vcc
	s_cbranch_execz .LBB41_50
; %bb.54:                               ;   in Loop: Header=BB41_52 Depth=3
	v_add_u32_e32 v20, 1, v21
	v_and_b32_e32 v20, 63, v20
	v_lshl_add_u32 v22, v20, 2, v26
	ds_read_b32 v22, v22
	s_mov_b64 s[54:55], -1
	s_mov_b64 s[52:53], -1
	s_waitcnt lgkmcnt(0)
	v_cmp_ne_u32_e32 vcc, -1, v22
	s_and_saveexec_b64 s[50:51], vcc
	s_cbranch_execz .LBB41_49
; %bb.55:                               ;   in Loop: Header=BB41_52 Depth=3
	v_cmp_ne_u32_e32 vcc, v22, v11
	s_mov_b64 s[58:59], 0
	s_and_saveexec_b64 s[52:53], vcc
	s_cbranch_execz .LBB41_48
; %bb.56:                               ;   in Loop: Header=BB41_52 Depth=3
	v_add_u32_e32 v20, 2, v21
	v_and_b32_e32 v20, 63, v20
	v_lshl_add_u32 v22, v20, 2, v26
	ds_read_b32 v22, v22
	s_mov_b64 s[56:57], -1
	s_mov_b64 s[60:61], -1
	s_waitcnt lgkmcnt(0)
	v_cmp_ne_u32_e32 vcc, -1, v22
	s_and_saveexec_b64 s[54:55], vcc
	s_cbranch_execz .LBB41_47
; %bb.57:                               ;   in Loop: Header=BB41_52 Depth=3
	v_cmp_ne_u32_e32 vcc, v22, v11
	s_mov_b64 s[58:59], -1
	s_mov_b64 s[60:61], 0
	s_and_saveexec_b64 s[56:57], vcc
	s_cbranch_execz .LBB41_46
; %bb.58:                               ;   in Loop: Header=BB41_52 Depth=3
	v_add_u32_e32 v20, 3, v21
	v_and_b32_e32 v20, 63, v20
	v_lshl_add_u32 v21, v20, 2, v26
	ds_read_b32 v22, v21
	s_mov_b64 s[62:63], -1
	s_mov_b64 s[60:61], -1
                                        ; implicit-def: $vgpr21
	s_waitcnt lgkmcnt(0)
	v_cmp_ne_u32_e32 vcc, -1, v22
	s_and_saveexec_b64 s[58:59], vcc
	s_cbranch_execz .LBB41_45
; %bb.59:                               ;   in Loop: Header=BB41_52 Depth=3
	v_cmp_ne_u32_e32 vcc, v22, v11
	s_mov_b64 s[60:61], 0
                                        ; implicit-def: $vgpr21
	s_and_saveexec_b64 s[64:65], vcc
	s_cbranch_execz .LBB41_44
; %bb.60:                               ;   in Loop: Header=BB41_52 Depth=3
	v_add_u32_e32 v12, -4, v12
	v_cmp_eq_u32_e32 vcc, 0, v12
	s_mov_b64 s[60:61], exec
	v_add_u32_e32 v21, 1, v20
	s_orn2_b64 s[62:63], vcc, exec
	s_branch .LBB41_44
.LBB41_61:                              ;   in Loop: Header=BB41_43 Depth=2
	s_or_b64 exec, exec, s[40:41]
	s_xor_b64 s[38:39], s[38:39], -1
	s_and_saveexec_b64 s[40:41], s[38:39]
	s_xor_b64 s[38:39], exec, s[40:41]
	s_cbranch_execz .LBB41_42
; %bb.62:                               ;   in Loop: Header=BB41_43 Depth=2
	v_lshl_add_u32 v11, v20, 2, v0
	ds_read_b32 v11, v11
	v_lshlrev_b64 v[20:21], 4, v[9:10]
	v_mov_b32_e32 v22, s17
	v_add_co_u32_e32 v38, vcc, s16, v20
	s_waitcnt lgkmcnt(0)
	v_ashrrev_i32_e32 v12, 31, v11
	v_lshlrev_b64 v[10:11], 4, v[11:12]
	v_addc_co_u32_e32 v39, vcc, v22, v21, vcc
	v_add_co_u32_e32 v10, vcc, s16, v10
	v_addc_co_u32_e32 v11, vcc, v22, v11, vcc
	global_load_dwordx4 v[20:23], v[38:39], off
	global_load_dwordx4 v[34:37], v[10:11], off
	s_waitcnt vmcnt(0)
	v_fma_f64 v[34:35], -v[5:6], v[20:21], v[34:35]
	v_fma_f64 v[36:37], -v[7:8], v[20:21], v[36:37]
	v_fma_f64 v[20:21], v[7:8], v[22:23], v[34:35]
	v_fma_f64 v[22:23], -v[5:6], v[22:23], v[36:37]
	global_store_dwordx4 v[10:11], v[20:23], off
	s_branch .LBB41_42
.LBB41_63:
	s_or_b64 exec, exec, s[22:23]
	v_cmp_lt_i32_e32 vcc, -1, v18
	s_and_saveexec_b64 s[12:13], vcc
	s_cbranch_execz .LBB41_85
; %bb.64:
	v_mov_b32_e32 v19, 0
	v_lshlrev_b64 v[5:6], 4, v[18:19]
	v_mov_b32_e32 v0, s17
	v_add_co_u32_e32 v9, vcc, s16, v5
	v_addc_co_u32_e32 v10, vcc, v0, v6, vcc
	global_load_dwordx4 v[5:8], v[9:10], off
                                        ; implicit-def: $vgpr20_vgpr21
	s_waitcnt vmcnt(0)
	v_cmp_gt_f64_e32 vcc, 0, v[5:6]
	v_xor_b32_e32 v0, 0x80000000, v6
	v_xor_b32_e32 v18, 0x80000000, v8
	v_mov_b32_e32 v11, v5
	v_cndmask_b32_e32 v12, v6, v0, vcc
	v_cmp_gt_f64_e32 vcc, 0, v[7:8]
	v_cndmask_b32_e32 v19, v8, v18, vcc
	v_mov_b32_e32 v18, v7
	v_cmp_ngt_f64_e32 vcc, v[11:12], v[18:19]
	s_and_saveexec_b64 s[8:9], vcc
	s_xor_b64 s[8:9], exec, s[8:9]
	s_cbranch_execz .LBB41_68
; %bb.65:
	v_cmp_neq_f64_e32 vcc, 0, v[7:8]
	v_mov_b32_e32 v20, 0
	v_mov_b32_e32 v21, 0
	s_and_saveexec_b64 s[14:15], vcc
	s_cbranch_execz .LBB41_67
; %bb.66:
	v_div_scale_f64 v[20:21], s[16:17], v[18:19], v[18:19], v[11:12]
	s_mov_b32 s16, 0
	s_brev_b32 s17, 8
	v_mov_b32_e32 v0, 0x100
	v_rcp_f64_e32 v[22:23], v[20:21]
	v_fma_f64 v[26:27], -v[20:21], v[22:23], 1.0
	v_fma_f64 v[22:23], v[22:23], v[26:27], v[22:23]
	v_div_scale_f64 v[26:27], vcc, v[11:12], v[18:19], v[11:12]
	v_fma_f64 v[28:29], -v[20:21], v[22:23], 1.0
	v_fma_f64 v[22:23], v[22:23], v[28:29], v[22:23]
	v_mul_f64 v[28:29], v[26:27], v[22:23]
	v_fma_f64 v[20:21], -v[20:21], v[28:29], v[26:27]
	v_div_fmas_f64 v[20:21], v[20:21], v[22:23], v[28:29]
	v_div_fixup_f64 v[11:12], v[20:21], v[18:19], v[11:12]
	v_fma_f64 v[11:12], v[11:12], v[11:12], 1.0
	v_cmp_gt_f64_e32 vcc, s[16:17], v[11:12]
	v_cndmask_b32_e32 v0, 0, v0, vcc
	v_ldexp_f64 v[11:12], v[11:12], v0
	v_mov_b32_e32 v0, 0xffffff80
	v_cndmask_b32_e32 v0, 0, v0, vcc
	v_rsq_f64_e32 v[20:21], v[11:12]
	v_mul_f64 v[22:23], v[11:12], v[20:21]
	v_mul_f64 v[20:21], v[20:21], 0.5
	v_fma_f64 v[26:27], -v[20:21], v[22:23], 0.5
	v_fma_f64 v[22:23], v[22:23], v[26:27], v[22:23]
	v_fma_f64 v[20:21], v[20:21], v[26:27], v[20:21]
	v_fma_f64 v[26:27], -v[22:23], v[22:23], v[11:12]
	v_fma_f64 v[22:23], v[26:27], v[20:21], v[22:23]
	v_fma_f64 v[26:27], -v[22:23], v[22:23], v[11:12]
	v_fma_f64 v[20:21], v[26:27], v[20:21], v[22:23]
	v_mov_b32_e32 v22, 0x260
	v_cmp_class_f64_e32 vcc, v[11:12], v22
	v_ldexp_f64 v[20:21], v[20:21], v0
	v_cndmask_b32_e32 v12, v21, v12, vcc
	v_cndmask_b32_e32 v11, v20, v11, vcc
	v_mul_f64 v[20:21], v[18:19], v[11:12]
.LBB41_67:
	s_or_b64 exec, exec, s[14:15]
                                        ; implicit-def: $vgpr11_vgpr12
                                        ; implicit-def: $vgpr18_vgpr19
.LBB41_68:
	s_andn2_saveexec_b64 s[8:9], s[8:9]
	s_cbranch_execz .LBB41_70
; %bb.69:
	v_div_scale_f64 v[20:21], s[14:15], v[11:12], v[11:12], v[18:19]
	s_mov_b32 s14, 0
	s_brev_b32 s15, 8
	v_mov_b32_e32 v0, 0x100
	v_rcp_f64_e32 v[22:23], v[20:21]
	v_fma_f64 v[26:27], -v[20:21], v[22:23], 1.0
	v_fma_f64 v[22:23], v[22:23], v[26:27], v[22:23]
	v_div_scale_f64 v[26:27], vcc, v[18:19], v[11:12], v[18:19]
	v_fma_f64 v[28:29], -v[20:21], v[22:23], 1.0
	v_fma_f64 v[22:23], v[22:23], v[28:29], v[22:23]
	v_mul_f64 v[28:29], v[26:27], v[22:23]
	v_fma_f64 v[20:21], -v[20:21], v[28:29], v[26:27]
	v_div_fmas_f64 v[20:21], v[20:21], v[22:23], v[28:29]
	v_div_fixup_f64 v[18:19], v[20:21], v[11:12], v[18:19]
	v_fma_f64 v[18:19], v[18:19], v[18:19], 1.0
	v_cmp_gt_f64_e32 vcc, s[14:15], v[18:19]
	v_cndmask_b32_e32 v0, 0, v0, vcc
	v_ldexp_f64 v[18:19], v[18:19], v0
	v_mov_b32_e32 v0, 0xffffff80
	v_cndmask_b32_e32 v0, 0, v0, vcc
	v_rsq_f64_e32 v[20:21], v[18:19]
	v_mul_f64 v[22:23], v[18:19], v[20:21]
	v_mul_f64 v[20:21], v[20:21], 0.5
	v_fma_f64 v[26:27], -v[20:21], v[22:23], 0.5
	v_fma_f64 v[22:23], v[22:23], v[26:27], v[22:23]
	v_fma_f64 v[20:21], v[20:21], v[26:27], v[20:21]
	v_fma_f64 v[26:27], -v[22:23], v[22:23], v[18:19]
	v_fma_f64 v[22:23], v[26:27], v[20:21], v[22:23]
	v_fma_f64 v[26:27], -v[22:23], v[22:23], v[18:19]
	v_fma_f64 v[20:21], v[26:27], v[20:21], v[22:23]
	v_mov_b32_e32 v22, 0x260
	v_cmp_class_f64_e32 vcc, v[18:19], v22
	v_ldexp_f64 v[20:21], v[20:21], v0
	v_cndmask_b32_e32 v19, v21, v19, vcc
	v_cndmask_b32_e32 v18, v20, v18, vcc
	v_mul_f64 v[20:21], v[11:12], v[18:19]
.LBB41_70:
	s_or_b64 exec, exec, s[8:9]
	v_cmp_eq_u32_e64 s[8:9], 0, v24
	s_and_b64 vcc, exec, s[6:7]
	s_mov_b64 s[6:7], -1
	s_cbranch_vccnz .LBB41_74
; %bb.71:
	v_cvt_f64_f32_e32 v[11:12], v25
	s_cmp_eq_u64 s[36:37], 8
	s_cselect_b64 vcc, -1, 0
	v_cndmask_b32_e32 v12, v12, v16, vcc
	v_cndmask_b32_e32 v11, v11, v15, vcc
	v_cmp_le_f64_e32 vcc, v[20:21], v[11:12]
	s_and_b64 s[14:15], s[8:9], vcc
	s_and_saveexec_b64 s[6:7], s[14:15]
	s_cbranch_execz .LBB41_73
; %bb.72:
	global_store_dwordx4 v[9:10], v[1:4], off
	s_waitcnt vmcnt(0)
	buffer_wbinvl1_vol
.LBB41_73:
	s_or_b64 exec, exec, s[6:7]
	s_mov_b64 s[6:7], 0
.LBB41_74:
	s_andn2_b64 vcc, exec, s[6:7]
	s_cbranch_vccnz .LBB41_85
; %bb.75:
	s_load_dwordx2 s[4:5], s[4:5], 0x48
	v_add_u32_e32 v0, s10, v17
	s_waitcnt lgkmcnt(0)
	v_cmp_ge_f64_e32 vcc, s[4:5], v[20:21]
	s_and_b64 s[6:7], s[8:9], vcc
	s_and_saveexec_b64 s[4:5], s[6:7]
	s_cbranch_execz .LBB41_80
; %bb.76:
	s_mov_b64 s[6:7], exec
	s_brev_b32 s10, -2
.LBB41_77:                              ; =>This Inner Loop Header: Depth=1
	s_ff1_i32_b64 s11, s[6:7]
	v_readlane_b32 s16, v0, s11
	s_lshl_b64 s[14:15], 1, s11
	s_min_i32 s10, s10, s16
	s_andn2_b64 s[6:7], s[6:7], s[14:15]
	s_cmp_lg_u64 s[6:7], 0
	s_cbranch_scc1 .LBB41_77
; %bb.78:
	v_mbcnt_lo_u32_b32 v1, exec_lo, 0
	v_mbcnt_hi_u32_b32 v1, exec_hi, v1
	v_cmp_eq_u32_e32 vcc, 0, v1
	s_and_saveexec_b64 s[6:7], vcc
	s_xor_b64 s[6:7], exec, s[6:7]
	s_cbranch_execz .LBB41_80
; %bb.79:
	v_mov_b32_e32 v1, 0
	v_mov_b32_e32 v2, s10
	global_atomic_smin v1, v2, s[26:27]
.LBB41_80:
	s_or_b64 exec, exec, s[4:5]
	v_cmp_eq_f64_e32 vcc, 0, v[5:6]
	v_cmp_eq_f64_e64 s[4:5], 0, v[7:8]
	s_and_b64 s[4:5], vcc, s[4:5]
	s_and_b64 s[4:5], s[8:9], s[4:5]
	s_and_b64 exec, exec, s[4:5]
	s_cbranch_execz .LBB41_85
; %bb.81:
	s_mov_b64 s[4:5], exec
	s_brev_b32 s6, -2
.LBB41_82:                              ; =>This Inner Loop Header: Depth=1
	s_ff1_i32_b64 s7, s[4:5]
	v_readlane_b32 s10, v0, s7
	s_lshl_b64 s[8:9], 1, s7
	s_min_i32 s6, s6, s10
	s_andn2_b64 s[4:5], s[4:5], s[8:9]
	s_cmp_lg_u64 s[4:5], 0
	s_cbranch_scc1 .LBB41_82
; %bb.83:
	v_mbcnt_lo_u32_b32 v0, exec_lo, 0
	v_mbcnt_hi_u32_b32 v0, exec_hi, v0
	v_cmp_eq_u32_e32 vcc, 0, v0
	s_and_saveexec_b64 s[4:5], vcc
	s_xor_b64 s[4:5], exec, s[4:5]
	s_cbranch_execz .LBB41_85
; %bb.84:
	v_mov_b32_e32 v0, 0
	v_mov_b32_e32 v1, s6
	global_atomic_smin v0, v1, s[24:25]
.LBB41_85:
	s_or_b64 exec, exec, s[12:13]
	v_cmp_eq_u32_e32 vcc, 0, v24
	s_waitcnt vmcnt(0)
	buffer_wbinvl1_vol
	s_and_b64 exec, exec, vcc
	s_cbranch_execz .LBB41_87
; %bb.86:
	v_mov_b32_e32 v1, s21
	v_add_co_u32_e32 v0, vcc, s20, v13
	v_addc_co_u32_e32 v1, vcc, v1, v14, vcc
	v_mov_b32_e32 v2, 1
	global_store_dword v[0:1], v2, off
.LBB41_87:
	s_endpgm
	.section	.rodata,"a",@progbits
	.p2align	6, 0x0
	.amdhsa_kernel _ZN9rocsparseL12csrilu0_hashILj256ELj32ELj2E21rocsparse_complex_numIdEEEviPKiS4_PT2_S4_PiS4_S7_S7_d21rocsparse_index_base_imNS_24const_host_device_scalarIfEENS9_IdEENS9_IS5_EEb
		.amdhsa_group_segment_fixed_size 4096
		.amdhsa_private_segment_fixed_size 16
		.amdhsa_kernarg_size 132
		.amdhsa_user_sgpr_count 8
		.amdhsa_user_sgpr_private_segment_buffer 1
		.amdhsa_user_sgpr_dispatch_ptr 0
		.amdhsa_user_sgpr_queue_ptr 0
		.amdhsa_user_sgpr_kernarg_segment_ptr 1
		.amdhsa_user_sgpr_dispatch_id 0
		.amdhsa_user_sgpr_flat_scratch_init 1
		.amdhsa_user_sgpr_private_segment_size 0
		.amdhsa_uses_dynamic_stack 0
		.amdhsa_system_sgpr_private_segment_wavefront_offset 1
		.amdhsa_system_sgpr_workgroup_id_x 1
		.amdhsa_system_sgpr_workgroup_id_y 0
		.amdhsa_system_sgpr_workgroup_id_z 0
		.amdhsa_system_sgpr_workgroup_info 0
		.amdhsa_system_vgpr_workitem_id 0
		.amdhsa_next_free_vgpr 44
		.amdhsa_next_free_sgpr 66
		.amdhsa_reserve_vcc 1
		.amdhsa_reserve_flat_scratch 1
		.amdhsa_float_round_mode_32 0
		.amdhsa_float_round_mode_16_64 0
		.amdhsa_float_denorm_mode_32 3
		.amdhsa_float_denorm_mode_16_64 3
		.amdhsa_dx10_clamp 1
		.amdhsa_ieee_mode 1
		.amdhsa_fp16_overflow 0
		.amdhsa_exception_fp_ieee_invalid_op 0
		.amdhsa_exception_fp_denorm_src 0
		.amdhsa_exception_fp_ieee_div_zero 0
		.amdhsa_exception_fp_ieee_overflow 0
		.amdhsa_exception_fp_ieee_underflow 0
		.amdhsa_exception_fp_ieee_inexact 0
		.amdhsa_exception_int_div_zero 0
	.end_amdhsa_kernel
	.section	.text._ZN9rocsparseL12csrilu0_hashILj256ELj32ELj2E21rocsparse_complex_numIdEEEviPKiS4_PT2_S4_PiS4_S7_S7_d21rocsparse_index_base_imNS_24const_host_device_scalarIfEENS9_IdEENS9_IS5_EEb,"axG",@progbits,_ZN9rocsparseL12csrilu0_hashILj256ELj32ELj2E21rocsparse_complex_numIdEEEviPKiS4_PT2_S4_PiS4_S7_S7_d21rocsparse_index_base_imNS_24const_host_device_scalarIfEENS9_IdEENS9_IS5_EEb,comdat
.Lfunc_end41:
	.size	_ZN9rocsparseL12csrilu0_hashILj256ELj32ELj2E21rocsparse_complex_numIdEEEviPKiS4_PT2_S4_PiS4_S7_S7_d21rocsparse_index_base_imNS_24const_host_device_scalarIfEENS9_IdEENS9_IS5_EEb, .Lfunc_end41-_ZN9rocsparseL12csrilu0_hashILj256ELj32ELj2E21rocsparse_complex_numIdEEEviPKiS4_PT2_S4_PiS4_S7_S7_d21rocsparse_index_base_imNS_24const_host_device_scalarIfEENS9_IdEENS9_IS5_EEb
                                        ; -- End function
	.set _ZN9rocsparseL12csrilu0_hashILj256ELj32ELj2E21rocsparse_complex_numIdEEEviPKiS4_PT2_S4_PiS4_S7_S7_d21rocsparse_index_base_imNS_24const_host_device_scalarIfEENS9_IdEENS9_IS5_EEb.num_vgpr, 44
	.set _ZN9rocsparseL12csrilu0_hashILj256ELj32ELj2E21rocsparse_complex_numIdEEEviPKiS4_PT2_S4_PiS4_S7_S7_d21rocsparse_index_base_imNS_24const_host_device_scalarIfEENS9_IdEENS9_IS5_EEb.num_agpr, 0
	.set _ZN9rocsparseL12csrilu0_hashILj256ELj32ELj2E21rocsparse_complex_numIdEEEviPKiS4_PT2_S4_PiS4_S7_S7_d21rocsparse_index_base_imNS_24const_host_device_scalarIfEENS9_IdEENS9_IS5_EEb.numbered_sgpr, 66
	.set _ZN9rocsparseL12csrilu0_hashILj256ELj32ELj2E21rocsparse_complex_numIdEEEviPKiS4_PT2_S4_PiS4_S7_S7_d21rocsparse_index_base_imNS_24const_host_device_scalarIfEENS9_IdEENS9_IS5_EEb.num_named_barrier, 0
	.set _ZN9rocsparseL12csrilu0_hashILj256ELj32ELj2E21rocsparse_complex_numIdEEEviPKiS4_PT2_S4_PiS4_S7_S7_d21rocsparse_index_base_imNS_24const_host_device_scalarIfEENS9_IdEENS9_IS5_EEb.private_seg_size, 16
	.set _ZN9rocsparseL12csrilu0_hashILj256ELj32ELj2E21rocsparse_complex_numIdEEEviPKiS4_PT2_S4_PiS4_S7_S7_d21rocsparse_index_base_imNS_24const_host_device_scalarIfEENS9_IdEENS9_IS5_EEb.uses_vcc, 1
	.set _ZN9rocsparseL12csrilu0_hashILj256ELj32ELj2E21rocsparse_complex_numIdEEEviPKiS4_PT2_S4_PiS4_S7_S7_d21rocsparse_index_base_imNS_24const_host_device_scalarIfEENS9_IdEENS9_IS5_EEb.uses_flat_scratch, 1
	.set _ZN9rocsparseL12csrilu0_hashILj256ELj32ELj2E21rocsparse_complex_numIdEEEviPKiS4_PT2_S4_PiS4_S7_S7_d21rocsparse_index_base_imNS_24const_host_device_scalarIfEENS9_IdEENS9_IS5_EEb.has_dyn_sized_stack, 0
	.set _ZN9rocsparseL12csrilu0_hashILj256ELj32ELj2E21rocsparse_complex_numIdEEEviPKiS4_PT2_S4_PiS4_S7_S7_d21rocsparse_index_base_imNS_24const_host_device_scalarIfEENS9_IdEENS9_IS5_EEb.has_recursion, 0
	.set _ZN9rocsparseL12csrilu0_hashILj256ELj32ELj2E21rocsparse_complex_numIdEEEviPKiS4_PT2_S4_PiS4_S7_S7_d21rocsparse_index_base_imNS_24const_host_device_scalarIfEENS9_IdEENS9_IS5_EEb.has_indirect_call, 0
	.section	.AMDGPU.csdata,"",@progbits
; Kernel info:
; codeLenInByte = 3344
; TotalNumSgprs: 72
; NumVgprs: 44
; ScratchSize: 16
; MemoryBound: 0
; FloatMode: 240
; IeeeMode: 1
; LDSByteSize: 4096 bytes/workgroup (compile time only)
; SGPRBlocks: 8
; VGPRBlocks: 10
; NumSGPRsForWavesPerEU: 72
; NumVGPRsForWavesPerEU: 44
; Occupancy: 5
; WaveLimiterHint : 1
; COMPUTE_PGM_RSRC2:SCRATCH_EN: 1
; COMPUTE_PGM_RSRC2:USER_SGPR: 8
; COMPUTE_PGM_RSRC2:TRAP_HANDLER: 0
; COMPUTE_PGM_RSRC2:TGID_X_EN: 1
; COMPUTE_PGM_RSRC2:TGID_Y_EN: 0
; COMPUTE_PGM_RSRC2:TGID_Z_EN: 0
; COMPUTE_PGM_RSRC2:TIDIG_COMP_CNT: 0
	.section	.text._ZN9rocsparseL12csrilu0_hashILj256ELj32ELj4E21rocsparse_complex_numIdEEEviPKiS4_PT2_S4_PiS4_S7_S7_d21rocsparse_index_base_imNS_24const_host_device_scalarIfEENS9_IdEENS9_IS5_EEb,"axG",@progbits,_ZN9rocsparseL12csrilu0_hashILj256ELj32ELj4E21rocsparse_complex_numIdEEEviPKiS4_PT2_S4_PiS4_S7_S7_d21rocsparse_index_base_imNS_24const_host_device_scalarIfEENS9_IdEENS9_IS5_EEb,comdat
	.globl	_ZN9rocsparseL12csrilu0_hashILj256ELj32ELj4E21rocsparse_complex_numIdEEEviPKiS4_PT2_S4_PiS4_S7_S7_d21rocsparse_index_base_imNS_24const_host_device_scalarIfEENS9_IdEENS9_IS5_EEb ; -- Begin function _ZN9rocsparseL12csrilu0_hashILj256ELj32ELj4E21rocsparse_complex_numIdEEEviPKiS4_PT2_S4_PiS4_S7_S7_d21rocsparse_index_base_imNS_24const_host_device_scalarIfEENS9_IdEENS9_IS5_EEb
	.p2align	8
	.type	_ZN9rocsparseL12csrilu0_hashILj256ELj32ELj4E21rocsparse_complex_numIdEEEviPKiS4_PT2_S4_PiS4_S7_S7_d21rocsparse_index_base_imNS_24const_host_device_scalarIfEENS9_IdEENS9_IS5_EEb,@function
_ZN9rocsparseL12csrilu0_hashILj256ELj32ELj4E21rocsparse_complex_numIdEEEviPKiS4_PT2_S4_PiS4_S7_S7_d21rocsparse_index_base_imNS_24const_host_device_scalarIfEENS9_IdEENS9_IS5_EEb: ; @_ZN9rocsparseL12csrilu0_hashILj256ELj32ELj4E21rocsparse_complex_numIdEEEviPKiS4_PT2_S4_PiS4_S7_S7_d21rocsparse_index_base_imNS_24const_host_device_scalarIfEENS9_IdEENS9_IS5_EEb
; %bb.0:
	s_add_u32 flat_scratch_lo, s6, s9
	s_load_dword s6, s[4:5], 0x80
	s_load_dwordx8 s[36:43], s[4:5], 0x58
	s_load_dwordx2 s[12:13], s[4:5], 0x78
	s_load_dwordx2 s[10:11], s[4:5], 0x50
	s_addc_u32 flat_scratch_hi, s7, 0
	s_add_u32 s0, s0, s9
	s_addc_u32 s1, s1, 0
	s_waitcnt lgkmcnt(0)
	s_bitcmp1_b32 s6, 0
	s_cselect_b64 s[14:15], -1, 0
	s_cmp_eq_u32 s11, 0
	s_cselect_b64 s[20:21], -1, 0
	s_cmp_lg_u32 s11, 0
	s_cselect_b64 s[16:17], -1, 0
	s_or_b64 s[22:23], s[20:21], s[14:15]
	s_xor_b64 s[6:7], s[22:23], -1
	v_mov_b32_e32 v1, s43
	s_and_b64 s[18:19], s[20:21], exec
	buffer_store_dword v1, off, s[0:3], 0 offset:4
	v_mov_b32_e32 v1, s42
	s_cselect_b32 s19, 0, s41
	s_cselect_b32 s18, 0, s40
	s_and_b64 vcc, exec, s[22:23]
	buffer_store_dword v1, off, s[0:3], 0
	s_cbranch_vccnz .LBB42_2
; %bb.1:
	s_load_dword s9, s[38:39], 0x0
	s_mov_b64 s[18:19], s[40:41]
	s_waitcnt lgkmcnt(0)
	v_mov_b32_e32 v25, s9
	v_mov_b32_e32 v15, s18
	s_andn2_b64 vcc, exec, s[6:7]
	v_mov_b32_e32 v16, s19
	s_cbranch_vccz .LBB42_3
	s_branch .LBB42_4
.LBB42_2:
	v_mov_b32_e32 v1, s38
	v_cndmask_b32_e64 v25, v1, 0, s[20:21]
	v_mov_b32_e32 v15, s18
	s_andn2_b64 vcc, exec, s[6:7]
	v_mov_b32_e32 v16, s19
	s_cbranch_vccnz .LBB42_4
.LBB42_3:
	v_mov_b32_e32 v1, s40
	v_mov_b32_e32 v2, s41
	flat_load_dwordx2 v[15:16], v[1:2]
.LBB42_4:
	v_cndmask_b32_e64 v1, 0, 1, s[16:17]
	v_mov_b32_e32 v3, 0
	v_cmp_ne_u32_e64 s[6:7], 1, v1
	v_mov_b32_e32 v1, 0
	v_mov_b32_e32 v4, 0
	s_andn2_b64 vcc, exec, s[16:17]
	v_mov_b32_e32 v2, 0
	s_cbranch_vccnz .LBB42_7
; %bb.5:
	s_xor_b64 s[18:19], s[14:15], -1
	s_mov_b64 s[16:17], src_private_base
	s_and_b64 s[14:15], s[14:15], exec
	s_cselect_b32 s9, s17, s43
	s_cselect_b32 s11, 0, s42
	v_mov_b32_e32 v1, s11
	v_mov_b32_e32 v2, s9
	flat_load_dwordx2 v[1:2], v[1:2]
	v_mov_b32_e32 v3, s12
	s_andn2_b64 vcc, exec, s[18:19]
	v_mov_b32_e32 v4, s13
	s_cbranch_vccnz .LBB42_7
; %bb.6:
	v_mov_b32_e32 v3, s42
	v_mov_b32_e32 v4, s43
	flat_load_dwordx2 v[3:4], v[3:4] offset:8
.LBB42_7:
	v_and_b32_e32 v24, 31, v0
	v_lshrrev_b32_e32 v5, 5, v0
	v_lshlrev_b32_e32 v7, 9, v5
	v_lshlrev_b32_e32 v8, 2, v24
	s_movk_i32 s9, 0x1000
	v_or_b32_e32 v6, 0xffffffe0, v24
	v_or3_b32 v7, v7, v8, s9
	s_mov_b64 s[12:13], 0
	v_mov_b32_e32 v8, -1
	s_movk_i32 s9, 0x5f
.LBB42_8:                               ; =>This Inner Loop Header: Depth=1
	v_add_u32_e32 v6, 32, v6
	v_cmp_lt_u32_e32 vcc, s9, v6
	ds_write_b32 v7, v8
	s_or_b64 s[12:13], vcc, s[12:13]
	v_add_u32_e32 v7, 0x80, v7
	s_andn2_b64 exec, exec, s[12:13]
	s_cbranch_execnz .LBB42_8
; %bb.9:
	s_or_b64 exec, exec, s[12:13]
	s_load_dword s9, s[4:5], 0x0
	s_lshl_b32 s8, s8, 3
	s_and_b32 s8, s8, 0x7fffff8
	v_or_b32_e32 v5, s8, v5
	s_waitcnt lgkmcnt(0)
	v_cmp_gt_i32_e32 vcc, s9, v5
	s_and_saveexec_b64 s[8:9], vcc
	s_cbranch_execz .LBB42_87
; %bb.10:
	s_load_dwordx16 s[12:27], s[4:5], 0x8
	v_lshlrev_b32_e32 v5, 2, v5
	v_lshlrev_b32_e32 v0, 4, v0
	v_and_b32_e32 v0, 0xe00, v0
	v_or_b32_e32 v26, 0x1000, v0
	s_waitcnt lgkmcnt(0)
	global_load_dword v17, v5, s[22:23]
	v_mov_b32_e32 v6, s13
	v_mov_b32_e32 v8, s19
	s_waitcnt vmcnt(0)
	v_ashrrev_i32_e32 v18, 31, v17
	v_lshlrev_b64 v[13:14], 2, v[17:18]
	v_add_co_u32_e32 v5, vcc, s12, v13
	v_addc_co_u32_e32 v6, vcc, v6, v14, vcc
	global_load_dwordx2 v[5:6], v[5:6], off
	v_add_co_u32_e32 v7, vcc, s18, v13
	v_addc_co_u32_e32 v8, vcc, v8, v14, vcc
	global_load_dword v18, v[7:8], off
	s_waitcnt vmcnt(1)
	v_subrev_u32_e32 v19, s10, v5
	v_subrev_u32_e32 v7, s10, v6
	v_add_u32_e32 v5, v19, v24
	v_cmp_lt_i32_e32 vcc, v5, v7
	s_and_saveexec_b64 s[8:9], vcc
	s_cbranch_execz .LBB42_33
; %bb.11:
	s_mov_b64 s[22:23], 0
	v_mov_b32_e32 v8, s15
	s_movk_i32 s11, 0x67
	v_mov_b32_e32 v9, -1
	s_branch .LBB42_13
.LBB42_12:                              ;   in Loop: Header=BB42_13 Depth=1
	s_or_b64 exec, exec, s[28:29]
	v_add_u32_e32 v5, 32, v5
	v_cmp_ge_i32_e32 vcc, v5, v7
	s_or_b64 s[22:23], vcc, s[22:23]
	s_andn2_b64 exec, exec, s[22:23]
	s_cbranch_execz .LBB42_33
.LBB42_13:                              ; =>This Loop Header: Depth=1
                                        ;     Child Loop BB42_22 Depth 2
	v_ashrrev_i32_e32 v6, 31, v5
	v_lshlrev_b64 v[10:11], 2, v[5:6]
	s_mov_b64 s[30:31], 0
	v_add_co_u32_e32 v10, vcc, s14, v10
	v_addc_co_u32_e32 v11, vcc, v8, v11, vcc
	global_load_dword v6, v[10:11], off
	v_mov_b32_e32 v10, 0x80
                                        ; implicit-def: $sgpr28_sgpr29
                                        ; implicit-def: $sgpr34_sgpr35
                                        ; implicit-def: $sgpr38_sgpr39
	s_waitcnt vmcnt(0)
	v_mul_lo_u32 v12, v6, s11
	s_branch .LBB42_22
.LBB42_14:                              ;   in Loop: Header=BB42_22 Depth=2
	s_or_b64 exec, exec, s[58:59]
	s_orn2_b64 s[54:55], s[54:55], exec
	s_orn2_b64 s[56:57], s[56:57], exec
.LBB42_15:                              ;   in Loop: Header=BB42_22 Depth=2
	s_or_b64 exec, exec, s[52:53]
	s_and_b64 s[54:55], s[54:55], exec
	s_orn2_b64 s[52:53], s[56:57], exec
.LBB42_16:                              ;   in Loop: Header=BB42_22 Depth=2
	s_or_b64 exec, exec, s[50:51]
	s_orn2_b64 s[54:55], s[54:55], exec
	s_orn2_b64 s[50:51], s[52:53], exec
.LBB42_17:                              ;   in Loop: Header=BB42_22 Depth=2
	s_or_b64 exec, exec, s[48:49]
	s_and_b64 s[52:53], s[54:55], exec
	s_orn2_b64 s[48:49], s[50:51], exec
.LBB42_18:                              ;   in Loop: Header=BB42_22 Depth=2
	s_or_b64 exec, exec, s[46:47]
	s_orn2_b64 s[46:47], s[52:53], exec
	s_orn2_b64 s[48:49], s[48:49], exec
.LBB42_19:                              ;   in Loop: Header=BB42_22 Depth=2
	s_or_b64 exec, exec, s[44:45]
	s_and_b64 s[46:47], s[46:47], exec
	s_orn2_b64 s[44:45], s[48:49], exec
.LBB42_20:                              ;   in Loop: Header=BB42_22 Depth=2
	s_or_b64 exec, exec, s[42:43]
	s_andn2_b64 s[38:39], s[38:39], exec
	s_and_b64 s[42:43], s[46:47], exec
	s_or_b64 s[38:39], s[38:39], s[42:43]
	s_andn2_b64 s[34:35], s[34:35], exec
	s_and_b64 s[42:43], s[44:45], exec
	s_or_b64 s[34:35], s[34:35], s[42:43]
.LBB42_21:                              ;   in Loop: Header=BB42_22 Depth=2
	s_or_b64 exec, exec, s[40:41]
	s_and_b64 s[40:41], exec, s[34:35]
	s_or_b64 s[30:31], s[40:41], s[30:31]
	s_andn2_b64 s[28:29], s[28:29], exec
	s_and_b64 s[40:41], s[38:39], exec
	s_or_b64 s[28:29], s[28:29], s[40:41]
	s_andn2_b64 exec, exec, s[30:31]
	s_cbranch_execz .LBB42_31
.LBB42_22:                              ;   Parent Loop BB42_13 Depth=1
                                        ; =>  This Inner Loop Header: Depth=2
	v_and_b32_e32 v11, 0x7f, v12
	v_lshl_add_u32 v20, v11, 2, v26
	ds_read_b32 v21, v20
	s_or_b64 s[38:39], s[38:39], exec
	s_or_b64 s[34:35], s[34:35], exec
	s_waitcnt lgkmcnt(0)
	v_cmp_ne_u32_e32 vcc, v21, v6
	s_and_saveexec_b64 s[40:41], vcc
	s_cbranch_execz .LBB42_21
; %bb.23:                               ;   in Loop: Header=BB42_22 Depth=2
	ds_cmpst_rtn_b32 v20, v20, v9, v6
	s_mov_b64 s[44:45], -1
	s_mov_b64 s[46:47], 0
	s_waitcnt lgkmcnt(0)
	v_cmp_ne_u32_e32 vcc, -1, v20
	s_and_saveexec_b64 s[42:43], vcc
	s_cbranch_execz .LBB42_20
; %bb.24:                               ;   in Loop: Header=BB42_22 Depth=2
	v_add_u32_e32 v11, 1, v12
	v_and_b32_e32 v11, 0x7f, v11
	v_lshl_add_u32 v20, v11, 2, v26
	ds_read_b32 v21, v20
	s_mov_b64 s[48:49], -1
	s_mov_b64 s[46:47], -1
	s_waitcnt lgkmcnt(0)
	v_cmp_ne_u32_e32 vcc, v21, v6
	s_and_saveexec_b64 s[44:45], vcc
	s_cbranch_execz .LBB42_19
; %bb.25:                               ;   in Loop: Header=BB42_22 Depth=2
	ds_cmpst_rtn_b32 v20, v20, v9, v6
	s_mov_b64 s[52:53], 0
	s_waitcnt lgkmcnt(0)
	v_cmp_ne_u32_e32 vcc, -1, v20
	s_and_saveexec_b64 s[46:47], vcc
	s_cbranch_execz .LBB42_18
; %bb.26:                               ;   in Loop: Header=BB42_22 Depth=2
	v_add_u32_e32 v11, 2, v12
	v_and_b32_e32 v11, 0x7f, v11
	v_lshl_add_u32 v20, v11, 2, v26
	ds_read_b32 v21, v20
	s_mov_b64 s[50:51], -1
	s_mov_b64 s[54:55], -1
	s_waitcnt lgkmcnt(0)
	v_cmp_ne_u32_e32 vcc, v21, v6
	s_and_saveexec_b64 s[48:49], vcc
	s_cbranch_execz .LBB42_17
; %bb.27:                               ;   in Loop: Header=BB42_22 Depth=2
	ds_cmpst_rtn_b32 v20, v20, v9, v6
	s_mov_b64 s[52:53], -1
	s_mov_b64 s[54:55], 0
	s_waitcnt lgkmcnt(0)
	v_cmp_ne_u32_e32 vcc, -1, v20
	s_and_saveexec_b64 s[50:51], vcc
	s_cbranch_execz .LBB42_16
; %bb.28:                               ;   in Loop: Header=BB42_22 Depth=2
	v_add_u32_e32 v11, 3, v12
	v_and_b32_e32 v11, 0x7f, v11
	v_lshl_add_u32 v20, v11, 2, v26
	ds_read_b32 v12, v20
	s_mov_b64 s[56:57], -1
	s_mov_b64 s[54:55], -1
	s_waitcnt lgkmcnt(0)
	v_cmp_ne_u32_e32 vcc, v12, v6
                                        ; implicit-def: $vgpr12
	s_and_saveexec_b64 s[52:53], vcc
	s_cbranch_execz .LBB42_15
; %bb.29:                               ;   in Loop: Header=BB42_22 Depth=2
	ds_cmpst_rtn_b32 v12, v20, v9, v6
	s_mov_b64 s[54:55], 0
	s_waitcnt lgkmcnt(0)
	v_cmp_ne_u32_e32 vcc, -1, v12
                                        ; implicit-def: $vgpr12
	s_and_saveexec_b64 s[58:59], vcc
	s_cbranch_execz .LBB42_14
; %bb.30:                               ;   in Loop: Header=BB42_22 Depth=2
	v_add_u32_e32 v10, -4, v10
	v_cmp_eq_u32_e32 vcc, 0, v10
	s_mov_b64 s[54:55], exec
	v_add_u32_e32 v12, 1, v11
	s_orn2_b64 s[56:57], vcc, exec
	s_branch .LBB42_14
.LBB42_31:                              ;   in Loop: Header=BB42_13 Depth=1
	s_or_b64 exec, exec, s[30:31]
	s_xor_b64 s[28:29], s[28:29], -1
	s_and_saveexec_b64 s[30:31], s[28:29]
	s_xor_b64 s[28:29], exec, s[30:31]
	s_cbranch_execz .LBB42_12
; %bb.32:                               ;   in Loop: Header=BB42_13 Depth=1
	v_lshl_add_u32 v6, v11, 2, v0
	ds_write_b32 v6, v5
	s_branch .LBB42_12
.LBB42_33:
	s_or_b64 exec, exec, s[8:9]
	s_waitcnt vmcnt(0)
	v_cmp_lt_i32_e32 vcc, v19, v18
	s_waitcnt lgkmcnt(0)
	s_and_saveexec_b64 s[22:23], vcc
	s_cbranch_execz .LBB42_63
; %bb.34:
	v_add_u32_e32 v27, 1, v24
	s_mov_b64 s[28:29], 0
	v_mov_b32_e32 v28, s15
	v_mov_b32_e32 v29, s17
	v_mov_b32_e32 v30, s13
	v_mov_b32_e32 v31, s19
	v_mov_b32_e32 v32, s21
	s_movk_i32 s11, 0x67
	s_branch .LBB42_37
.LBB42_35:                              ;   in Loop: Header=BB42_37 Depth=1
	s_or_b64 exec, exec, s[30:31]
	v_add_u32_e32 v19, 1, v19
	v_cmp_ge_i32_e32 vcc, v19, v18
	s_orn2_b64 s[30:31], vcc, exec
.LBB42_36:                              ;   in Loop: Header=BB42_37 Depth=1
	s_or_b64 exec, exec, s[8:9]
	s_and_b64 s[8:9], exec, s[30:31]
	s_or_b64 s[28:29], s[8:9], s[28:29]
	s_andn2_b64 exec, exec, s[28:29]
	s_cbranch_execz .LBB42_63
.LBB42_37:                              ; =>This Loop Header: Depth=1
                                        ;     Child Loop BB42_38 Depth 2
                                        ;     Child Loop BB42_43 Depth 2
                                        ;       Child Loop BB42_52 Depth 3
	v_ashrrev_i32_e32 v20, 31, v19
	v_lshlrev_b64 v[5:6], 2, v[19:20]
	s_mov_b64 s[8:9], 0
	v_add_co_u32_e32 v5, vcc, s14, v5
	v_addc_co_u32_e32 v6, vcc, v28, v6, vcc
	global_load_dword v9, v[5:6], off
	v_lshlrev_b64 v[5:6], 4, v[19:20]
	v_add_co_u32_e32 v20, vcc, s16, v5
	v_addc_co_u32_e32 v21, vcc, v29, v6, vcc
	global_load_dwordx4 v[5:8], v[20:21], off
	s_waitcnt vmcnt(1)
	v_subrev_u32_e32 v9, s10, v9
	v_ashrrev_i32_e32 v10, 31, v9
	v_lshlrev_b64 v[9:10], 2, v[9:10]
	v_add_co_u32_e32 v22, vcc, s12, v9
	v_addc_co_u32_e32 v23, vcc, v30, v10, vcc
	v_add_co_u32_e32 v33, vcc, s18, v9
	v_addc_co_u32_e32 v34, vcc, v31, v10, vcc
	global_load_dword v11, v[22:23], off offset:4
	global_load_dword v12, v[33:34], off
	v_add_co_u32_e32 v9, vcc, s20, v9
	v_addc_co_u32_e32 v10, vcc, v32, v10, vcc
.LBB42_38:                              ;   Parent Loop BB42_37 Depth=1
                                        ; =>  This Inner Loop Header: Depth=2
	global_load_dword v22, v[9:10], off glc
	s_waitcnt vmcnt(0)
	v_cmp_ne_u32_e32 vcc, 0, v22
	s_or_b64 s[8:9], vcc, s[8:9]
	s_andn2_b64 exec, exec, s[8:9]
	s_cbranch_execnz .LBB42_38
; %bb.39:                               ;   in Loop: Header=BB42_37 Depth=1
	s_or_b64 exec, exec, s[8:9]
	v_subrev_u32_e32 v33, s10, v11
	v_add_u32_e32 v9, -1, v33
	v_cmp_eq_u32_e32 vcc, -1, v12
	v_cndmask_b32_e32 v22, v12, v9, vcc
	v_ashrrev_i32_e32 v23, 31, v22
	v_lshlrev_b64 v[9:10], 4, v[22:23]
	buffer_wbinvl1_vol
	v_add_co_u32_e32 v9, vcc, s16, v9
	v_addc_co_u32_e32 v10, vcc, v29, v10, vcc
	global_load_dwordx4 v[9:12], v[9:10], off
	s_mov_b64 s[30:31], -1
	s_waitcnt vmcnt(0)
	v_cmp_neq_f64_e32 vcc, 0, v[9:10]
	v_cmp_neq_f64_e64 s[8:9], 0, v[11:12]
	s_or_b64 s[34:35], vcc, s[8:9]
	s_and_saveexec_b64 s[8:9], s[34:35]
	s_cbranch_execz .LBB42_36
; %bb.40:                               ;   in Loop: Header=BB42_37 Depth=1
	v_mul_f64 v[34:35], v[11:12], v[11:12]
	v_fma_f64 v[34:35], v[9:10], v[9:10], v[34:35]
	v_div_scale_f64 v[36:37], s[30:31], v[34:35], v[34:35], 1.0
	v_rcp_f64_e32 v[38:39], v[36:37]
	v_fma_f64 v[40:41], -v[36:37], v[38:39], 1.0
	v_fma_f64 v[38:39], v[38:39], v[40:41], v[38:39]
	v_div_scale_f64 v[40:41], vcc, 1.0, v[34:35], 1.0
	v_fma_f64 v[42:43], -v[36:37], v[38:39], 1.0
	v_fma_f64 v[38:39], v[38:39], v[42:43], v[38:39]
	v_mul_f64 v[42:43], v[40:41], v[38:39]
	v_fma_f64 v[36:37], -v[36:37], v[42:43], v[40:41]
	v_div_fmas_f64 v[36:37], v[36:37], v[38:39], v[42:43]
	v_mul_f64 v[38:39], v[7:8], v[11:12]
	v_mul_f64 v[11:12], v[11:12], -v[5:6]
	v_fma_f64 v[5:6], v[5:6], v[9:10], v[38:39]
	v_fma_f64 v[7:8], v[7:8], v[9:10], v[11:12]
	v_add_u32_e32 v9, v27, v22
	v_cmp_lt_i32_e32 vcc, v9, v33
	v_div_fixup_f64 v[34:35], v[36:37], v[34:35], 1.0
	v_mul_f64 v[5:6], v[5:6], v[34:35]
	v_mul_f64 v[7:8], v[7:8], v[34:35]
	global_store_dwordx4 v[20:21], v[5:8], off
	s_and_saveexec_b64 s[30:31], vcc
	s_cbranch_execz .LBB42_35
; %bb.41:                               ;   in Loop: Header=BB42_37 Depth=1
	s_mov_b64 s[34:35], 0
	s_branch .LBB42_43
.LBB42_42:                              ;   in Loop: Header=BB42_43 Depth=2
	s_or_b64 exec, exec, s[38:39]
	v_add_u32_e32 v9, 32, v9
	v_cmp_ge_i32_e32 vcc, v9, v33
	s_or_b64 s[34:35], vcc, s[34:35]
	s_andn2_b64 exec, exec, s[34:35]
	s_cbranch_execz .LBB42_35
.LBB42_43:                              ;   Parent Loop BB42_37 Depth=1
                                        ; =>  This Loop Header: Depth=2
                                        ;       Child Loop BB42_52 Depth 3
	v_ashrrev_i32_e32 v10, 31, v9
	v_lshlrev_b64 v[11:12], 2, v[9:10]
	s_mov_b64 s[40:41], 0
	v_add_co_u32_e32 v11, vcc, s14, v11
	v_addc_co_u32_e32 v12, vcc, v28, v12, vcc
	global_load_dword v11, v[11:12], off
	v_mov_b32_e32 v12, 0x80
                                        ; implicit-def: $sgpr38_sgpr39
                                        ; implicit-def: $sgpr42_sgpr43
                                        ; implicit-def: $sgpr44_sgpr45
	s_waitcnt vmcnt(0)
	v_mul_lo_u32 v21, v11, s11
	s_branch .LBB42_52
.LBB42_44:                              ;   in Loop: Header=BB42_52 Depth=3
	s_or_b64 exec, exec, s[64:65]
	s_orn2_b64 s[60:61], s[60:61], exec
	s_orn2_b64 s[62:63], s[62:63], exec
.LBB42_45:                              ;   in Loop: Header=BB42_52 Depth=3
	s_or_b64 exec, exec, s[58:59]
	s_and_b64 s[60:61], s[60:61], exec
	s_orn2_b64 s[58:59], s[62:63], exec
.LBB42_46:                              ;   in Loop: Header=BB42_52 Depth=3
	s_or_b64 exec, exec, s[56:57]
	s_orn2_b64 s[60:61], s[60:61], exec
	s_orn2_b64 s[56:57], s[58:59], exec
.LBB42_47:                              ;   in Loop: Header=BB42_52 Depth=3
	s_or_b64 exec, exec, s[54:55]
	s_and_b64 s[58:59], s[60:61], exec
	s_orn2_b64 s[54:55], s[56:57], exec
.LBB42_48:                              ;   in Loop: Header=BB42_52 Depth=3
	s_or_b64 exec, exec, s[52:53]
	s_orn2_b64 s[52:53], s[58:59], exec
	s_orn2_b64 s[54:55], s[54:55], exec
.LBB42_49:                              ;   in Loop: Header=BB42_52 Depth=3
	s_or_b64 exec, exec, s[50:51]
	s_and_b64 s[52:53], s[52:53], exec
	s_orn2_b64 s[50:51], s[54:55], exec
.LBB42_50:                              ;   in Loop: Header=BB42_52 Depth=3
	s_or_b64 exec, exec, s[48:49]
	s_andn2_b64 s[44:45], s[44:45], exec
	s_and_b64 s[48:49], s[52:53], exec
	s_or_b64 s[44:45], s[44:45], s[48:49]
	s_andn2_b64 s[42:43], s[42:43], exec
	s_and_b64 s[48:49], s[50:51], exec
	s_or_b64 s[42:43], s[42:43], s[48:49]
.LBB42_51:                              ;   in Loop: Header=BB42_52 Depth=3
	s_or_b64 exec, exec, s[46:47]
	s_and_b64 s[46:47], exec, s[42:43]
	s_or_b64 s[40:41], s[46:47], s[40:41]
	s_andn2_b64 s[38:39], s[38:39], exec
	s_and_b64 s[46:47], s[44:45], exec
	s_or_b64 s[38:39], s[38:39], s[46:47]
	s_andn2_b64 exec, exec, s[40:41]
	s_cbranch_execz .LBB42_61
.LBB42_52:                              ;   Parent Loop BB42_37 Depth=1
                                        ;     Parent Loop BB42_43 Depth=2
                                        ; =>    This Inner Loop Header: Depth=3
	v_and_b32_e32 v20, 0x7f, v21
	v_lshl_add_u32 v22, v20, 2, v26
	ds_read_b32 v22, v22
	s_or_b64 s[44:45], s[44:45], exec
	s_or_b64 s[42:43], s[42:43], exec
	s_waitcnt lgkmcnt(0)
	v_cmp_ne_u32_e32 vcc, -1, v22
	s_and_saveexec_b64 s[46:47], vcc
	s_cbranch_execz .LBB42_51
; %bb.53:                               ;   in Loop: Header=BB42_52 Depth=3
	v_cmp_ne_u32_e32 vcc, v22, v11
	s_mov_b64 s[50:51], -1
	s_mov_b64 s[52:53], 0
	s_and_saveexec_b64 s[48:49], vcc
	s_cbranch_execz .LBB42_50
; %bb.54:                               ;   in Loop: Header=BB42_52 Depth=3
	v_add_u32_e32 v20, 1, v21
	v_and_b32_e32 v20, 0x7f, v20
	v_lshl_add_u32 v22, v20, 2, v26
	ds_read_b32 v22, v22
	s_mov_b64 s[54:55], -1
	s_mov_b64 s[52:53], -1
	s_waitcnt lgkmcnt(0)
	v_cmp_ne_u32_e32 vcc, -1, v22
	s_and_saveexec_b64 s[50:51], vcc
	s_cbranch_execz .LBB42_49
; %bb.55:                               ;   in Loop: Header=BB42_52 Depth=3
	v_cmp_ne_u32_e32 vcc, v22, v11
	s_mov_b64 s[58:59], 0
	s_and_saveexec_b64 s[52:53], vcc
	s_cbranch_execz .LBB42_48
; %bb.56:                               ;   in Loop: Header=BB42_52 Depth=3
	v_add_u32_e32 v20, 2, v21
	v_and_b32_e32 v20, 0x7f, v20
	v_lshl_add_u32 v22, v20, 2, v26
	ds_read_b32 v22, v22
	s_mov_b64 s[56:57], -1
	s_mov_b64 s[60:61], -1
	s_waitcnt lgkmcnt(0)
	v_cmp_ne_u32_e32 vcc, -1, v22
	s_and_saveexec_b64 s[54:55], vcc
	s_cbranch_execz .LBB42_47
; %bb.57:                               ;   in Loop: Header=BB42_52 Depth=3
	v_cmp_ne_u32_e32 vcc, v22, v11
	s_mov_b64 s[58:59], -1
	s_mov_b64 s[60:61], 0
	s_and_saveexec_b64 s[56:57], vcc
	s_cbranch_execz .LBB42_46
; %bb.58:                               ;   in Loop: Header=BB42_52 Depth=3
	v_add_u32_e32 v20, 3, v21
	v_and_b32_e32 v20, 0x7f, v20
	v_lshl_add_u32 v21, v20, 2, v26
	ds_read_b32 v22, v21
	s_mov_b64 s[62:63], -1
	s_mov_b64 s[60:61], -1
                                        ; implicit-def: $vgpr21
	s_waitcnt lgkmcnt(0)
	v_cmp_ne_u32_e32 vcc, -1, v22
	s_and_saveexec_b64 s[58:59], vcc
	s_cbranch_execz .LBB42_45
; %bb.59:                               ;   in Loop: Header=BB42_52 Depth=3
	v_cmp_ne_u32_e32 vcc, v22, v11
	s_mov_b64 s[60:61], 0
                                        ; implicit-def: $vgpr21
	s_and_saveexec_b64 s[64:65], vcc
	s_cbranch_execz .LBB42_44
; %bb.60:                               ;   in Loop: Header=BB42_52 Depth=3
	v_add_u32_e32 v12, -4, v12
	v_cmp_eq_u32_e32 vcc, 0, v12
	s_mov_b64 s[60:61], exec
	v_add_u32_e32 v21, 1, v20
	s_orn2_b64 s[62:63], vcc, exec
	s_branch .LBB42_44
.LBB42_61:                              ;   in Loop: Header=BB42_43 Depth=2
	s_or_b64 exec, exec, s[40:41]
	s_xor_b64 s[38:39], s[38:39], -1
	s_and_saveexec_b64 s[40:41], s[38:39]
	s_xor_b64 s[38:39], exec, s[40:41]
	s_cbranch_execz .LBB42_42
; %bb.62:                               ;   in Loop: Header=BB42_43 Depth=2
	v_lshl_add_u32 v11, v20, 2, v0
	ds_read_b32 v11, v11
	v_lshlrev_b64 v[20:21], 4, v[9:10]
	v_add_co_u32_e32 v38, vcc, s16, v20
	s_waitcnt lgkmcnt(0)
	v_ashrrev_i32_e32 v12, 31, v11
	v_lshlrev_b64 v[10:11], 4, v[11:12]
	v_addc_co_u32_e32 v39, vcc, v29, v21, vcc
	v_add_co_u32_e32 v10, vcc, s16, v10
	v_addc_co_u32_e32 v11, vcc, v29, v11, vcc
	global_load_dwordx4 v[20:23], v[38:39], off
	global_load_dwordx4 v[34:37], v[10:11], off
	s_waitcnt vmcnt(0)
	v_fma_f64 v[34:35], -v[5:6], v[20:21], v[34:35]
	v_fma_f64 v[36:37], -v[7:8], v[20:21], v[36:37]
	v_fma_f64 v[20:21], v[7:8], v[22:23], v[34:35]
	v_fma_f64 v[22:23], -v[5:6], v[22:23], v[36:37]
	global_store_dwordx4 v[10:11], v[20:23], off
	s_branch .LBB42_42
.LBB42_63:
	s_or_b64 exec, exec, s[22:23]
	v_cmp_lt_i32_e32 vcc, -1, v18
	s_and_saveexec_b64 s[12:13], vcc
	s_cbranch_execz .LBB42_85
; %bb.64:
	v_mov_b32_e32 v19, 0
	v_lshlrev_b64 v[5:6], 4, v[18:19]
	v_mov_b32_e32 v0, s17
	v_add_co_u32_e32 v9, vcc, s16, v5
	v_addc_co_u32_e32 v10, vcc, v0, v6, vcc
	global_load_dwordx4 v[5:8], v[9:10], off
                                        ; implicit-def: $vgpr20_vgpr21
	s_waitcnt vmcnt(0)
	v_cmp_gt_f64_e32 vcc, 0, v[5:6]
	v_xor_b32_e32 v0, 0x80000000, v6
	v_xor_b32_e32 v18, 0x80000000, v8
	v_mov_b32_e32 v11, v5
	v_cndmask_b32_e32 v12, v6, v0, vcc
	v_cmp_gt_f64_e32 vcc, 0, v[7:8]
	v_cndmask_b32_e32 v19, v8, v18, vcc
	v_mov_b32_e32 v18, v7
	v_cmp_ngt_f64_e32 vcc, v[11:12], v[18:19]
	s_and_saveexec_b64 s[8:9], vcc
	s_xor_b64 s[8:9], exec, s[8:9]
	s_cbranch_execz .LBB42_68
; %bb.65:
	v_cmp_neq_f64_e32 vcc, 0, v[7:8]
	v_mov_b32_e32 v20, 0
	v_mov_b32_e32 v21, 0
	s_and_saveexec_b64 s[14:15], vcc
	s_cbranch_execz .LBB42_67
; %bb.66:
	v_div_scale_f64 v[20:21], s[16:17], v[18:19], v[18:19], v[11:12]
	s_mov_b32 s16, 0
	s_brev_b32 s17, 8
	v_mov_b32_e32 v0, 0x100
	v_rcp_f64_e32 v[22:23], v[20:21]
	v_fma_f64 v[26:27], -v[20:21], v[22:23], 1.0
	v_fma_f64 v[22:23], v[22:23], v[26:27], v[22:23]
	v_div_scale_f64 v[26:27], vcc, v[11:12], v[18:19], v[11:12]
	v_fma_f64 v[28:29], -v[20:21], v[22:23], 1.0
	v_fma_f64 v[22:23], v[22:23], v[28:29], v[22:23]
	v_mul_f64 v[28:29], v[26:27], v[22:23]
	v_fma_f64 v[20:21], -v[20:21], v[28:29], v[26:27]
	v_div_fmas_f64 v[20:21], v[20:21], v[22:23], v[28:29]
	v_div_fixup_f64 v[11:12], v[20:21], v[18:19], v[11:12]
	v_fma_f64 v[11:12], v[11:12], v[11:12], 1.0
	v_cmp_gt_f64_e32 vcc, s[16:17], v[11:12]
	v_cndmask_b32_e32 v0, 0, v0, vcc
	v_ldexp_f64 v[11:12], v[11:12], v0
	v_mov_b32_e32 v0, 0xffffff80
	v_cndmask_b32_e32 v0, 0, v0, vcc
	v_rsq_f64_e32 v[20:21], v[11:12]
	v_mul_f64 v[22:23], v[11:12], v[20:21]
	v_mul_f64 v[20:21], v[20:21], 0.5
	v_fma_f64 v[26:27], -v[20:21], v[22:23], 0.5
	v_fma_f64 v[22:23], v[22:23], v[26:27], v[22:23]
	v_fma_f64 v[20:21], v[20:21], v[26:27], v[20:21]
	v_fma_f64 v[26:27], -v[22:23], v[22:23], v[11:12]
	v_fma_f64 v[22:23], v[26:27], v[20:21], v[22:23]
	v_fma_f64 v[26:27], -v[22:23], v[22:23], v[11:12]
	v_fma_f64 v[20:21], v[26:27], v[20:21], v[22:23]
	v_mov_b32_e32 v22, 0x260
	v_cmp_class_f64_e32 vcc, v[11:12], v22
	v_ldexp_f64 v[20:21], v[20:21], v0
	v_cndmask_b32_e32 v12, v21, v12, vcc
	v_cndmask_b32_e32 v11, v20, v11, vcc
	v_mul_f64 v[20:21], v[18:19], v[11:12]
.LBB42_67:
	s_or_b64 exec, exec, s[14:15]
                                        ; implicit-def: $vgpr11_vgpr12
                                        ; implicit-def: $vgpr18_vgpr19
.LBB42_68:
	s_andn2_saveexec_b64 s[8:9], s[8:9]
	s_cbranch_execz .LBB42_70
; %bb.69:
	v_div_scale_f64 v[20:21], s[14:15], v[11:12], v[11:12], v[18:19]
	s_mov_b32 s14, 0
	s_brev_b32 s15, 8
	v_mov_b32_e32 v0, 0x100
	v_rcp_f64_e32 v[22:23], v[20:21]
	v_fma_f64 v[26:27], -v[20:21], v[22:23], 1.0
	v_fma_f64 v[22:23], v[22:23], v[26:27], v[22:23]
	v_div_scale_f64 v[26:27], vcc, v[18:19], v[11:12], v[18:19]
	v_fma_f64 v[28:29], -v[20:21], v[22:23], 1.0
	v_fma_f64 v[22:23], v[22:23], v[28:29], v[22:23]
	v_mul_f64 v[28:29], v[26:27], v[22:23]
	v_fma_f64 v[20:21], -v[20:21], v[28:29], v[26:27]
	v_div_fmas_f64 v[20:21], v[20:21], v[22:23], v[28:29]
	v_div_fixup_f64 v[18:19], v[20:21], v[11:12], v[18:19]
	v_fma_f64 v[18:19], v[18:19], v[18:19], 1.0
	v_cmp_gt_f64_e32 vcc, s[14:15], v[18:19]
	v_cndmask_b32_e32 v0, 0, v0, vcc
	v_ldexp_f64 v[18:19], v[18:19], v0
	v_mov_b32_e32 v0, 0xffffff80
	v_cndmask_b32_e32 v0, 0, v0, vcc
	v_rsq_f64_e32 v[20:21], v[18:19]
	v_mul_f64 v[22:23], v[18:19], v[20:21]
	v_mul_f64 v[20:21], v[20:21], 0.5
	v_fma_f64 v[26:27], -v[20:21], v[22:23], 0.5
	v_fma_f64 v[22:23], v[22:23], v[26:27], v[22:23]
	v_fma_f64 v[20:21], v[20:21], v[26:27], v[20:21]
	v_fma_f64 v[26:27], -v[22:23], v[22:23], v[18:19]
	v_fma_f64 v[22:23], v[26:27], v[20:21], v[22:23]
	v_fma_f64 v[26:27], -v[22:23], v[22:23], v[18:19]
	v_fma_f64 v[20:21], v[26:27], v[20:21], v[22:23]
	v_mov_b32_e32 v22, 0x260
	v_cmp_class_f64_e32 vcc, v[18:19], v22
	v_ldexp_f64 v[20:21], v[20:21], v0
	v_cndmask_b32_e32 v19, v21, v19, vcc
	v_cndmask_b32_e32 v18, v20, v18, vcc
	v_mul_f64 v[20:21], v[11:12], v[18:19]
.LBB42_70:
	s_or_b64 exec, exec, s[8:9]
	v_cmp_eq_u32_e64 s[8:9], 0, v24
	s_and_b64 vcc, exec, s[6:7]
	s_mov_b64 s[6:7], -1
	s_cbranch_vccnz .LBB42_74
; %bb.71:
	v_cvt_f64_f32_e32 v[11:12], v25
	s_cmp_eq_u64 s[36:37], 8
	s_cselect_b64 vcc, -1, 0
	v_cndmask_b32_e32 v12, v12, v16, vcc
	v_cndmask_b32_e32 v11, v11, v15, vcc
	v_cmp_le_f64_e32 vcc, v[20:21], v[11:12]
	s_and_b64 s[14:15], s[8:9], vcc
	s_and_saveexec_b64 s[6:7], s[14:15]
	s_cbranch_execz .LBB42_73
; %bb.72:
	global_store_dwordx4 v[9:10], v[1:4], off
	s_waitcnt vmcnt(0)
	buffer_wbinvl1_vol
.LBB42_73:
	s_or_b64 exec, exec, s[6:7]
	s_mov_b64 s[6:7], 0
.LBB42_74:
	s_andn2_b64 vcc, exec, s[6:7]
	s_cbranch_vccnz .LBB42_85
; %bb.75:
	s_load_dwordx2 s[4:5], s[4:5], 0x48
	v_add_u32_e32 v0, s10, v17
	s_waitcnt lgkmcnt(0)
	v_cmp_ge_f64_e32 vcc, s[4:5], v[20:21]
	s_and_b64 s[6:7], s[8:9], vcc
	s_and_saveexec_b64 s[4:5], s[6:7]
	s_cbranch_execz .LBB42_80
; %bb.76:
	s_mov_b64 s[6:7], exec
	s_brev_b32 s10, -2
.LBB42_77:                              ; =>This Inner Loop Header: Depth=1
	s_ff1_i32_b64 s11, s[6:7]
	v_readlane_b32 s16, v0, s11
	s_lshl_b64 s[14:15], 1, s11
	s_min_i32 s10, s10, s16
	s_andn2_b64 s[6:7], s[6:7], s[14:15]
	s_cmp_lg_u64 s[6:7], 0
	s_cbranch_scc1 .LBB42_77
; %bb.78:
	v_mbcnt_lo_u32_b32 v1, exec_lo, 0
	v_mbcnt_hi_u32_b32 v1, exec_hi, v1
	v_cmp_eq_u32_e32 vcc, 0, v1
	s_and_saveexec_b64 s[6:7], vcc
	s_xor_b64 s[6:7], exec, s[6:7]
	s_cbranch_execz .LBB42_80
; %bb.79:
	v_mov_b32_e32 v1, 0
	v_mov_b32_e32 v2, s10
	global_atomic_smin v1, v2, s[26:27]
.LBB42_80:
	s_or_b64 exec, exec, s[4:5]
	v_cmp_eq_f64_e32 vcc, 0, v[5:6]
	v_cmp_eq_f64_e64 s[4:5], 0, v[7:8]
	s_and_b64 s[4:5], vcc, s[4:5]
	s_and_b64 s[4:5], s[8:9], s[4:5]
	s_and_b64 exec, exec, s[4:5]
	s_cbranch_execz .LBB42_85
; %bb.81:
	s_mov_b64 s[4:5], exec
	s_brev_b32 s6, -2
.LBB42_82:                              ; =>This Inner Loop Header: Depth=1
	s_ff1_i32_b64 s7, s[4:5]
	v_readlane_b32 s10, v0, s7
	s_lshl_b64 s[8:9], 1, s7
	s_min_i32 s6, s6, s10
	s_andn2_b64 s[4:5], s[4:5], s[8:9]
	s_cmp_lg_u64 s[4:5], 0
	s_cbranch_scc1 .LBB42_82
; %bb.83:
	v_mbcnt_lo_u32_b32 v0, exec_lo, 0
	v_mbcnt_hi_u32_b32 v0, exec_hi, v0
	v_cmp_eq_u32_e32 vcc, 0, v0
	s_and_saveexec_b64 s[4:5], vcc
	s_xor_b64 s[4:5], exec, s[4:5]
	s_cbranch_execz .LBB42_85
; %bb.84:
	v_mov_b32_e32 v0, 0
	v_mov_b32_e32 v1, s6
	global_atomic_smin v0, v1, s[24:25]
.LBB42_85:
	s_or_b64 exec, exec, s[12:13]
	v_cmp_eq_u32_e32 vcc, 0, v24
	s_waitcnt vmcnt(0)
	buffer_wbinvl1_vol
	s_and_b64 exec, exec, vcc
	s_cbranch_execz .LBB42_87
; %bb.86:
	v_mov_b32_e32 v1, s21
	v_add_co_u32_e32 v0, vcc, s20, v13
	v_addc_co_u32_e32 v1, vcc, v1, v14, vcc
	v_mov_b32_e32 v2, 1
	global_store_dword v[0:1], v2, off
.LBB42_87:
	s_endpgm
	.section	.rodata,"a",@progbits
	.p2align	6, 0x0
	.amdhsa_kernel _ZN9rocsparseL12csrilu0_hashILj256ELj32ELj4E21rocsparse_complex_numIdEEEviPKiS4_PT2_S4_PiS4_S7_S7_d21rocsparse_index_base_imNS_24const_host_device_scalarIfEENS9_IdEENS9_IS5_EEb
		.amdhsa_group_segment_fixed_size 8192
		.amdhsa_private_segment_fixed_size 16
		.amdhsa_kernarg_size 132
		.amdhsa_user_sgpr_count 8
		.amdhsa_user_sgpr_private_segment_buffer 1
		.amdhsa_user_sgpr_dispatch_ptr 0
		.amdhsa_user_sgpr_queue_ptr 0
		.amdhsa_user_sgpr_kernarg_segment_ptr 1
		.amdhsa_user_sgpr_dispatch_id 0
		.amdhsa_user_sgpr_flat_scratch_init 1
		.amdhsa_user_sgpr_private_segment_size 0
		.amdhsa_uses_dynamic_stack 0
		.amdhsa_system_sgpr_private_segment_wavefront_offset 1
		.amdhsa_system_sgpr_workgroup_id_x 1
		.amdhsa_system_sgpr_workgroup_id_y 0
		.amdhsa_system_sgpr_workgroup_id_z 0
		.amdhsa_system_sgpr_workgroup_info 0
		.amdhsa_system_vgpr_workitem_id 0
		.amdhsa_next_free_vgpr 44
		.amdhsa_next_free_sgpr 66
		.amdhsa_reserve_vcc 1
		.amdhsa_reserve_flat_scratch 1
		.amdhsa_float_round_mode_32 0
		.amdhsa_float_round_mode_16_64 0
		.amdhsa_float_denorm_mode_32 3
		.amdhsa_float_denorm_mode_16_64 3
		.amdhsa_dx10_clamp 1
		.amdhsa_ieee_mode 1
		.amdhsa_fp16_overflow 0
		.amdhsa_exception_fp_ieee_invalid_op 0
		.amdhsa_exception_fp_denorm_src 0
		.amdhsa_exception_fp_ieee_div_zero 0
		.amdhsa_exception_fp_ieee_overflow 0
		.amdhsa_exception_fp_ieee_underflow 0
		.amdhsa_exception_fp_ieee_inexact 0
		.amdhsa_exception_int_div_zero 0
	.end_amdhsa_kernel
	.section	.text._ZN9rocsparseL12csrilu0_hashILj256ELj32ELj4E21rocsparse_complex_numIdEEEviPKiS4_PT2_S4_PiS4_S7_S7_d21rocsparse_index_base_imNS_24const_host_device_scalarIfEENS9_IdEENS9_IS5_EEb,"axG",@progbits,_ZN9rocsparseL12csrilu0_hashILj256ELj32ELj4E21rocsparse_complex_numIdEEEviPKiS4_PT2_S4_PiS4_S7_S7_d21rocsparse_index_base_imNS_24const_host_device_scalarIfEENS9_IdEENS9_IS5_EEb,comdat
.Lfunc_end42:
	.size	_ZN9rocsparseL12csrilu0_hashILj256ELj32ELj4E21rocsparse_complex_numIdEEEviPKiS4_PT2_S4_PiS4_S7_S7_d21rocsparse_index_base_imNS_24const_host_device_scalarIfEENS9_IdEENS9_IS5_EEb, .Lfunc_end42-_ZN9rocsparseL12csrilu0_hashILj256ELj32ELj4E21rocsparse_complex_numIdEEEviPKiS4_PT2_S4_PiS4_S7_S7_d21rocsparse_index_base_imNS_24const_host_device_scalarIfEENS9_IdEENS9_IS5_EEb
                                        ; -- End function
	.set _ZN9rocsparseL12csrilu0_hashILj256ELj32ELj4E21rocsparse_complex_numIdEEEviPKiS4_PT2_S4_PiS4_S7_S7_d21rocsparse_index_base_imNS_24const_host_device_scalarIfEENS9_IdEENS9_IS5_EEb.num_vgpr, 44
	.set _ZN9rocsparseL12csrilu0_hashILj256ELj32ELj4E21rocsparse_complex_numIdEEEviPKiS4_PT2_S4_PiS4_S7_S7_d21rocsparse_index_base_imNS_24const_host_device_scalarIfEENS9_IdEENS9_IS5_EEb.num_agpr, 0
	.set _ZN9rocsparseL12csrilu0_hashILj256ELj32ELj4E21rocsparse_complex_numIdEEEviPKiS4_PT2_S4_PiS4_S7_S7_d21rocsparse_index_base_imNS_24const_host_device_scalarIfEENS9_IdEENS9_IS5_EEb.numbered_sgpr, 66
	.set _ZN9rocsparseL12csrilu0_hashILj256ELj32ELj4E21rocsparse_complex_numIdEEEviPKiS4_PT2_S4_PiS4_S7_S7_d21rocsparse_index_base_imNS_24const_host_device_scalarIfEENS9_IdEENS9_IS5_EEb.num_named_barrier, 0
	.set _ZN9rocsparseL12csrilu0_hashILj256ELj32ELj4E21rocsparse_complex_numIdEEEviPKiS4_PT2_S4_PiS4_S7_S7_d21rocsparse_index_base_imNS_24const_host_device_scalarIfEENS9_IdEENS9_IS5_EEb.private_seg_size, 16
	.set _ZN9rocsparseL12csrilu0_hashILj256ELj32ELj4E21rocsparse_complex_numIdEEEviPKiS4_PT2_S4_PiS4_S7_S7_d21rocsparse_index_base_imNS_24const_host_device_scalarIfEENS9_IdEENS9_IS5_EEb.uses_vcc, 1
	.set _ZN9rocsparseL12csrilu0_hashILj256ELj32ELj4E21rocsparse_complex_numIdEEEviPKiS4_PT2_S4_PiS4_S7_S7_d21rocsparse_index_base_imNS_24const_host_device_scalarIfEENS9_IdEENS9_IS5_EEb.uses_flat_scratch, 1
	.set _ZN9rocsparseL12csrilu0_hashILj256ELj32ELj4E21rocsparse_complex_numIdEEEviPKiS4_PT2_S4_PiS4_S7_S7_d21rocsparse_index_base_imNS_24const_host_device_scalarIfEENS9_IdEENS9_IS5_EEb.has_dyn_sized_stack, 0
	.set _ZN9rocsparseL12csrilu0_hashILj256ELj32ELj4E21rocsparse_complex_numIdEEEviPKiS4_PT2_S4_PiS4_S7_S7_d21rocsparse_index_base_imNS_24const_host_device_scalarIfEENS9_IdEENS9_IS5_EEb.has_recursion, 0
	.set _ZN9rocsparseL12csrilu0_hashILj256ELj32ELj4E21rocsparse_complex_numIdEEEviPKiS4_PT2_S4_PiS4_S7_S7_d21rocsparse_index_base_imNS_24const_host_device_scalarIfEENS9_IdEENS9_IS5_EEb.has_indirect_call, 0
	.section	.AMDGPU.csdata,"",@progbits
; Kernel info:
; codeLenInByte = 3384
; TotalNumSgprs: 72
; NumVgprs: 44
; ScratchSize: 16
; MemoryBound: 0
; FloatMode: 240
; IeeeMode: 1
; LDSByteSize: 8192 bytes/workgroup (compile time only)
; SGPRBlocks: 8
; VGPRBlocks: 10
; NumSGPRsForWavesPerEU: 72
; NumVGPRsForWavesPerEU: 44
; Occupancy: 5
; WaveLimiterHint : 1
; COMPUTE_PGM_RSRC2:SCRATCH_EN: 1
; COMPUTE_PGM_RSRC2:USER_SGPR: 8
; COMPUTE_PGM_RSRC2:TRAP_HANDLER: 0
; COMPUTE_PGM_RSRC2:TGID_X_EN: 1
; COMPUTE_PGM_RSRC2:TGID_Y_EN: 0
; COMPUTE_PGM_RSRC2:TGID_Z_EN: 0
; COMPUTE_PGM_RSRC2:TIDIG_COMP_CNT: 0
	.section	.text._ZN9rocsparseL12csrilu0_hashILj256ELj32ELj8E21rocsparse_complex_numIdEEEviPKiS4_PT2_S4_PiS4_S7_S7_d21rocsparse_index_base_imNS_24const_host_device_scalarIfEENS9_IdEENS9_IS5_EEb,"axG",@progbits,_ZN9rocsparseL12csrilu0_hashILj256ELj32ELj8E21rocsparse_complex_numIdEEEviPKiS4_PT2_S4_PiS4_S7_S7_d21rocsparse_index_base_imNS_24const_host_device_scalarIfEENS9_IdEENS9_IS5_EEb,comdat
	.globl	_ZN9rocsparseL12csrilu0_hashILj256ELj32ELj8E21rocsparse_complex_numIdEEEviPKiS4_PT2_S4_PiS4_S7_S7_d21rocsparse_index_base_imNS_24const_host_device_scalarIfEENS9_IdEENS9_IS5_EEb ; -- Begin function _ZN9rocsparseL12csrilu0_hashILj256ELj32ELj8E21rocsparse_complex_numIdEEEviPKiS4_PT2_S4_PiS4_S7_S7_d21rocsparse_index_base_imNS_24const_host_device_scalarIfEENS9_IdEENS9_IS5_EEb
	.p2align	8
	.type	_ZN9rocsparseL12csrilu0_hashILj256ELj32ELj8E21rocsparse_complex_numIdEEEviPKiS4_PT2_S4_PiS4_S7_S7_d21rocsparse_index_base_imNS_24const_host_device_scalarIfEENS9_IdEENS9_IS5_EEb,@function
_ZN9rocsparseL12csrilu0_hashILj256ELj32ELj8E21rocsparse_complex_numIdEEEviPKiS4_PT2_S4_PiS4_S7_S7_d21rocsparse_index_base_imNS_24const_host_device_scalarIfEENS9_IdEENS9_IS5_EEb: ; @_ZN9rocsparseL12csrilu0_hashILj256ELj32ELj8E21rocsparse_complex_numIdEEEviPKiS4_PT2_S4_PiS4_S7_S7_d21rocsparse_index_base_imNS_24const_host_device_scalarIfEENS9_IdEENS9_IS5_EEb
; %bb.0:
	s_add_u32 flat_scratch_lo, s6, s9
	s_load_dword s6, s[4:5], 0x80
	s_load_dwordx8 s[36:43], s[4:5], 0x58
	s_load_dwordx2 s[12:13], s[4:5], 0x78
	s_load_dwordx2 s[10:11], s[4:5], 0x50
	s_addc_u32 flat_scratch_hi, s7, 0
	s_add_u32 s0, s0, s9
	s_addc_u32 s1, s1, 0
	s_waitcnt lgkmcnt(0)
	s_bitcmp1_b32 s6, 0
	s_cselect_b64 s[14:15], -1, 0
	s_cmp_eq_u32 s11, 0
	s_cselect_b64 s[20:21], -1, 0
	s_cmp_lg_u32 s11, 0
	s_cselect_b64 s[16:17], -1, 0
	s_or_b64 s[22:23], s[20:21], s[14:15]
	s_xor_b64 s[6:7], s[22:23], -1
	v_mov_b32_e32 v1, s43
	s_and_b64 s[18:19], s[20:21], exec
	buffer_store_dword v1, off, s[0:3], 0 offset:4
	v_mov_b32_e32 v1, s42
	s_cselect_b32 s19, 0, s41
	s_cselect_b32 s18, 0, s40
	s_and_b64 vcc, exec, s[22:23]
	buffer_store_dword v1, off, s[0:3], 0
	s_cbranch_vccnz .LBB43_2
; %bb.1:
	s_load_dword s9, s[38:39], 0x0
	s_mov_b64 s[18:19], s[40:41]
	s_waitcnt lgkmcnt(0)
	v_mov_b32_e32 v25, s9
	v_mov_b32_e32 v15, s18
	s_andn2_b64 vcc, exec, s[6:7]
	v_mov_b32_e32 v16, s19
	s_cbranch_vccz .LBB43_3
	s_branch .LBB43_4
.LBB43_2:
	v_mov_b32_e32 v1, s38
	v_cndmask_b32_e64 v25, v1, 0, s[20:21]
	v_mov_b32_e32 v15, s18
	s_andn2_b64 vcc, exec, s[6:7]
	v_mov_b32_e32 v16, s19
	s_cbranch_vccnz .LBB43_4
.LBB43_3:
	v_mov_b32_e32 v1, s40
	v_mov_b32_e32 v2, s41
	flat_load_dwordx2 v[15:16], v[1:2]
.LBB43_4:
	v_cndmask_b32_e64 v1, 0, 1, s[16:17]
	v_mov_b32_e32 v3, 0
	v_cmp_ne_u32_e64 s[6:7], 1, v1
	v_mov_b32_e32 v1, 0
	v_mov_b32_e32 v4, 0
	s_andn2_b64 vcc, exec, s[16:17]
	v_mov_b32_e32 v2, 0
	s_cbranch_vccnz .LBB43_7
; %bb.5:
	s_xor_b64 s[18:19], s[14:15], -1
	s_mov_b64 s[16:17], src_private_base
	s_and_b64 s[14:15], s[14:15], exec
	s_cselect_b32 s9, s17, s43
	s_cselect_b32 s11, 0, s42
	v_mov_b32_e32 v1, s11
	v_mov_b32_e32 v2, s9
	flat_load_dwordx2 v[1:2], v[1:2]
	v_mov_b32_e32 v3, s12
	s_andn2_b64 vcc, exec, s[18:19]
	v_mov_b32_e32 v4, s13
	s_cbranch_vccnz .LBB43_7
; %bb.6:
	v_mov_b32_e32 v3, s42
	v_mov_b32_e32 v4, s43
	flat_load_dwordx2 v[3:4], v[3:4] offset:8
.LBB43_7:
	v_and_b32_e32 v24, 31, v0
	v_lshrrev_b32_e32 v5, 5, v0
	v_lshlrev_b32_e32 v7, 10, v5
	v_lshlrev_b32_e32 v8, 2, v24
	s_movk_i32 s9, 0x2000
	v_or_b32_e32 v6, 0xffffffe0, v24
	v_or3_b32 v7, v7, v8, s9
	s_mov_b64 s[12:13], 0
	v_mov_b32_e32 v8, -1
	s_movk_i32 s9, 0xdf
.LBB43_8:                               ; =>This Inner Loop Header: Depth=1
	v_add_u32_e32 v6, 32, v6
	v_cmp_lt_u32_e32 vcc, s9, v6
	ds_write_b32 v7, v8
	s_or_b64 s[12:13], vcc, s[12:13]
	v_add_u32_e32 v7, 0x80, v7
	s_andn2_b64 exec, exec, s[12:13]
	s_cbranch_execnz .LBB43_8
; %bb.9:
	s_or_b64 exec, exec, s[12:13]
	s_load_dword s9, s[4:5], 0x0
	s_lshl_b32 s8, s8, 3
	s_and_b32 s8, s8, 0x7fffff8
	v_or_b32_e32 v5, s8, v5
	s_waitcnt lgkmcnt(0)
	v_cmp_gt_i32_e32 vcc, s9, v5
	s_and_saveexec_b64 s[8:9], vcc
	s_cbranch_execz .LBB43_87
; %bb.10:
	s_load_dwordx16 s[12:27], s[4:5], 0x8
	v_lshlrev_b32_e32 v5, 2, v5
	v_lshlrev_b32_e32 v0, 5, v0
	v_and_b32_e32 v0, 0x1c00, v0
	v_or_b32_e32 v26, 0x2000, v0
	s_waitcnt lgkmcnt(0)
	global_load_dword v17, v5, s[22:23]
	v_mov_b32_e32 v6, s13
	v_mov_b32_e32 v8, s19
	s_waitcnt vmcnt(0)
	v_ashrrev_i32_e32 v18, 31, v17
	v_lshlrev_b64 v[13:14], 2, v[17:18]
	v_add_co_u32_e32 v5, vcc, s12, v13
	v_addc_co_u32_e32 v6, vcc, v6, v14, vcc
	global_load_dwordx2 v[5:6], v[5:6], off
	v_add_co_u32_e32 v7, vcc, s18, v13
	v_addc_co_u32_e32 v8, vcc, v8, v14, vcc
	global_load_dword v18, v[7:8], off
	s_waitcnt vmcnt(1)
	v_subrev_u32_e32 v19, s10, v5
	v_subrev_u32_e32 v7, s10, v6
	v_add_u32_e32 v5, v19, v24
	v_cmp_lt_i32_e32 vcc, v5, v7
	s_and_saveexec_b64 s[8:9], vcc
	s_cbranch_execz .LBB43_33
; %bb.11:
	s_mov_b64 s[22:23], 0
	v_mov_b32_e32 v8, s15
	s_movk_i32 s11, 0x67
	v_mov_b32_e32 v9, -1
	s_branch .LBB43_13
.LBB43_12:                              ;   in Loop: Header=BB43_13 Depth=1
	s_or_b64 exec, exec, s[28:29]
	v_add_u32_e32 v5, 32, v5
	v_cmp_ge_i32_e32 vcc, v5, v7
	s_or_b64 s[22:23], vcc, s[22:23]
	s_andn2_b64 exec, exec, s[22:23]
	s_cbranch_execz .LBB43_33
.LBB43_13:                              ; =>This Loop Header: Depth=1
                                        ;     Child Loop BB43_22 Depth 2
	v_ashrrev_i32_e32 v6, 31, v5
	v_lshlrev_b64 v[10:11], 2, v[5:6]
	s_mov_b64 s[30:31], 0
	v_add_co_u32_e32 v10, vcc, s14, v10
	v_addc_co_u32_e32 v11, vcc, v8, v11, vcc
	global_load_dword v6, v[10:11], off
	v_mov_b32_e32 v10, 0x100
                                        ; implicit-def: $sgpr28_sgpr29
                                        ; implicit-def: $sgpr34_sgpr35
                                        ; implicit-def: $sgpr38_sgpr39
	s_waitcnt vmcnt(0)
	v_mul_lo_u32 v12, v6, s11
	s_branch .LBB43_22
.LBB43_14:                              ;   in Loop: Header=BB43_22 Depth=2
	s_or_b64 exec, exec, s[58:59]
	s_orn2_b64 s[54:55], s[54:55], exec
	s_orn2_b64 s[56:57], s[56:57], exec
.LBB43_15:                              ;   in Loop: Header=BB43_22 Depth=2
	s_or_b64 exec, exec, s[52:53]
	s_and_b64 s[54:55], s[54:55], exec
	s_orn2_b64 s[52:53], s[56:57], exec
.LBB43_16:                              ;   in Loop: Header=BB43_22 Depth=2
	s_or_b64 exec, exec, s[50:51]
	s_orn2_b64 s[54:55], s[54:55], exec
	s_orn2_b64 s[50:51], s[52:53], exec
.LBB43_17:                              ;   in Loop: Header=BB43_22 Depth=2
	s_or_b64 exec, exec, s[48:49]
	s_and_b64 s[52:53], s[54:55], exec
	s_orn2_b64 s[48:49], s[50:51], exec
.LBB43_18:                              ;   in Loop: Header=BB43_22 Depth=2
	s_or_b64 exec, exec, s[46:47]
	s_orn2_b64 s[46:47], s[52:53], exec
	s_orn2_b64 s[48:49], s[48:49], exec
.LBB43_19:                              ;   in Loop: Header=BB43_22 Depth=2
	s_or_b64 exec, exec, s[44:45]
	s_and_b64 s[46:47], s[46:47], exec
	s_orn2_b64 s[44:45], s[48:49], exec
.LBB43_20:                              ;   in Loop: Header=BB43_22 Depth=2
	s_or_b64 exec, exec, s[42:43]
	s_andn2_b64 s[38:39], s[38:39], exec
	s_and_b64 s[42:43], s[46:47], exec
	s_or_b64 s[38:39], s[38:39], s[42:43]
	s_andn2_b64 s[34:35], s[34:35], exec
	s_and_b64 s[42:43], s[44:45], exec
	s_or_b64 s[34:35], s[34:35], s[42:43]
.LBB43_21:                              ;   in Loop: Header=BB43_22 Depth=2
	s_or_b64 exec, exec, s[40:41]
	s_and_b64 s[40:41], exec, s[34:35]
	s_or_b64 s[30:31], s[40:41], s[30:31]
	s_andn2_b64 s[28:29], s[28:29], exec
	s_and_b64 s[40:41], s[38:39], exec
	s_or_b64 s[28:29], s[28:29], s[40:41]
	s_andn2_b64 exec, exec, s[30:31]
	s_cbranch_execz .LBB43_31
.LBB43_22:                              ;   Parent Loop BB43_13 Depth=1
                                        ; =>  This Inner Loop Header: Depth=2
	v_and_b32_e32 v11, 0xff, v12
	v_lshl_add_u32 v20, v11, 2, v26
	ds_read_b32 v21, v20
	s_or_b64 s[38:39], s[38:39], exec
	s_or_b64 s[34:35], s[34:35], exec
	s_waitcnt lgkmcnt(0)
	v_cmp_ne_u32_e32 vcc, v21, v6
	s_and_saveexec_b64 s[40:41], vcc
	s_cbranch_execz .LBB43_21
; %bb.23:                               ;   in Loop: Header=BB43_22 Depth=2
	ds_cmpst_rtn_b32 v20, v20, v9, v6
	s_mov_b64 s[44:45], -1
	s_mov_b64 s[46:47], 0
	s_waitcnt lgkmcnt(0)
	v_cmp_ne_u32_e32 vcc, -1, v20
	s_and_saveexec_b64 s[42:43], vcc
	s_cbranch_execz .LBB43_20
; %bb.24:                               ;   in Loop: Header=BB43_22 Depth=2
	v_add_u32_e32 v11, 1, v12
	v_and_b32_e32 v11, 0xff, v11
	v_lshl_add_u32 v20, v11, 2, v26
	ds_read_b32 v21, v20
	s_mov_b64 s[48:49], -1
	s_mov_b64 s[46:47], -1
	s_waitcnt lgkmcnt(0)
	v_cmp_ne_u32_e32 vcc, v21, v6
	s_and_saveexec_b64 s[44:45], vcc
	s_cbranch_execz .LBB43_19
; %bb.25:                               ;   in Loop: Header=BB43_22 Depth=2
	ds_cmpst_rtn_b32 v20, v20, v9, v6
	s_mov_b64 s[52:53], 0
	s_waitcnt lgkmcnt(0)
	v_cmp_ne_u32_e32 vcc, -1, v20
	s_and_saveexec_b64 s[46:47], vcc
	s_cbranch_execz .LBB43_18
; %bb.26:                               ;   in Loop: Header=BB43_22 Depth=2
	v_add_u32_e32 v11, 2, v12
	v_and_b32_e32 v11, 0xff, v11
	v_lshl_add_u32 v20, v11, 2, v26
	ds_read_b32 v21, v20
	s_mov_b64 s[50:51], -1
	s_mov_b64 s[54:55], -1
	s_waitcnt lgkmcnt(0)
	v_cmp_ne_u32_e32 vcc, v21, v6
	s_and_saveexec_b64 s[48:49], vcc
	s_cbranch_execz .LBB43_17
; %bb.27:                               ;   in Loop: Header=BB43_22 Depth=2
	ds_cmpst_rtn_b32 v20, v20, v9, v6
	s_mov_b64 s[52:53], -1
	s_mov_b64 s[54:55], 0
	s_waitcnt lgkmcnt(0)
	v_cmp_ne_u32_e32 vcc, -1, v20
	s_and_saveexec_b64 s[50:51], vcc
	s_cbranch_execz .LBB43_16
; %bb.28:                               ;   in Loop: Header=BB43_22 Depth=2
	v_add_u32_e32 v11, 3, v12
	v_and_b32_e32 v11, 0xff, v11
	v_lshl_add_u32 v20, v11, 2, v26
	ds_read_b32 v12, v20
	s_mov_b64 s[56:57], -1
	s_mov_b64 s[54:55], -1
	s_waitcnt lgkmcnt(0)
	v_cmp_ne_u32_e32 vcc, v12, v6
                                        ; implicit-def: $vgpr12
	s_and_saveexec_b64 s[52:53], vcc
	s_cbranch_execz .LBB43_15
; %bb.29:                               ;   in Loop: Header=BB43_22 Depth=2
	ds_cmpst_rtn_b32 v12, v20, v9, v6
	s_mov_b64 s[54:55], 0
	s_waitcnt lgkmcnt(0)
	v_cmp_ne_u32_e32 vcc, -1, v12
                                        ; implicit-def: $vgpr12
	s_and_saveexec_b64 s[58:59], vcc
	s_cbranch_execz .LBB43_14
; %bb.30:                               ;   in Loop: Header=BB43_22 Depth=2
	v_add_u32_e32 v10, -4, v10
	v_cmp_eq_u32_e32 vcc, 0, v10
	s_mov_b64 s[54:55], exec
	v_add_u32_e32 v12, 1, v11
	s_orn2_b64 s[56:57], vcc, exec
	s_branch .LBB43_14
.LBB43_31:                              ;   in Loop: Header=BB43_13 Depth=1
	s_or_b64 exec, exec, s[30:31]
	s_xor_b64 s[28:29], s[28:29], -1
	s_and_saveexec_b64 s[30:31], s[28:29]
	s_xor_b64 s[28:29], exec, s[30:31]
	s_cbranch_execz .LBB43_12
; %bb.32:                               ;   in Loop: Header=BB43_13 Depth=1
	v_lshl_add_u32 v6, v11, 2, v0
	ds_write_b32 v6, v5
	s_branch .LBB43_12
.LBB43_33:
	s_or_b64 exec, exec, s[8:9]
	s_waitcnt vmcnt(0)
	v_cmp_lt_i32_e32 vcc, v19, v18
	s_waitcnt lgkmcnt(0)
	s_and_saveexec_b64 s[22:23], vcc
	s_cbranch_execz .LBB43_63
; %bb.34:
	v_add_u32_e32 v27, 1, v24
	s_mov_b64 s[28:29], 0
	v_mov_b32_e32 v28, s15
	v_mov_b32_e32 v29, s17
	;; [unrolled: 1-line block ×5, first 2 shown]
	s_movk_i32 s11, 0x67
	s_branch .LBB43_37
.LBB43_35:                              ;   in Loop: Header=BB43_37 Depth=1
	s_or_b64 exec, exec, s[30:31]
	v_add_u32_e32 v19, 1, v19
	v_cmp_ge_i32_e32 vcc, v19, v18
	s_orn2_b64 s[30:31], vcc, exec
.LBB43_36:                              ;   in Loop: Header=BB43_37 Depth=1
	s_or_b64 exec, exec, s[8:9]
	s_and_b64 s[8:9], exec, s[30:31]
	s_or_b64 s[28:29], s[8:9], s[28:29]
	s_andn2_b64 exec, exec, s[28:29]
	s_cbranch_execz .LBB43_63
.LBB43_37:                              ; =>This Loop Header: Depth=1
                                        ;     Child Loop BB43_38 Depth 2
                                        ;     Child Loop BB43_43 Depth 2
                                        ;       Child Loop BB43_52 Depth 3
	v_ashrrev_i32_e32 v20, 31, v19
	v_lshlrev_b64 v[5:6], 2, v[19:20]
	s_mov_b64 s[8:9], 0
	v_add_co_u32_e32 v5, vcc, s14, v5
	v_addc_co_u32_e32 v6, vcc, v28, v6, vcc
	global_load_dword v9, v[5:6], off
	v_lshlrev_b64 v[5:6], 4, v[19:20]
	v_add_co_u32_e32 v20, vcc, s16, v5
	v_addc_co_u32_e32 v21, vcc, v29, v6, vcc
	global_load_dwordx4 v[5:8], v[20:21], off
	s_waitcnt vmcnt(1)
	v_subrev_u32_e32 v9, s10, v9
	v_ashrrev_i32_e32 v10, 31, v9
	v_lshlrev_b64 v[9:10], 2, v[9:10]
	v_add_co_u32_e32 v22, vcc, s12, v9
	v_addc_co_u32_e32 v23, vcc, v30, v10, vcc
	v_add_co_u32_e32 v33, vcc, s18, v9
	v_addc_co_u32_e32 v34, vcc, v31, v10, vcc
	global_load_dword v11, v[22:23], off offset:4
	global_load_dword v12, v[33:34], off
	v_add_co_u32_e32 v9, vcc, s20, v9
	v_addc_co_u32_e32 v10, vcc, v32, v10, vcc
.LBB43_38:                              ;   Parent Loop BB43_37 Depth=1
                                        ; =>  This Inner Loop Header: Depth=2
	global_load_dword v22, v[9:10], off glc
	s_waitcnt vmcnt(0)
	v_cmp_ne_u32_e32 vcc, 0, v22
	s_or_b64 s[8:9], vcc, s[8:9]
	s_andn2_b64 exec, exec, s[8:9]
	s_cbranch_execnz .LBB43_38
; %bb.39:                               ;   in Loop: Header=BB43_37 Depth=1
	s_or_b64 exec, exec, s[8:9]
	v_subrev_u32_e32 v33, s10, v11
	v_add_u32_e32 v9, -1, v33
	v_cmp_eq_u32_e32 vcc, -1, v12
	v_cndmask_b32_e32 v22, v12, v9, vcc
	v_ashrrev_i32_e32 v23, 31, v22
	v_lshlrev_b64 v[9:10], 4, v[22:23]
	buffer_wbinvl1_vol
	v_add_co_u32_e32 v9, vcc, s16, v9
	v_addc_co_u32_e32 v10, vcc, v29, v10, vcc
	global_load_dwordx4 v[9:12], v[9:10], off
	s_mov_b64 s[30:31], -1
	s_waitcnt vmcnt(0)
	v_cmp_neq_f64_e32 vcc, 0, v[9:10]
	v_cmp_neq_f64_e64 s[8:9], 0, v[11:12]
	s_or_b64 s[34:35], vcc, s[8:9]
	s_and_saveexec_b64 s[8:9], s[34:35]
	s_cbranch_execz .LBB43_36
; %bb.40:                               ;   in Loop: Header=BB43_37 Depth=1
	v_mul_f64 v[34:35], v[11:12], v[11:12]
	v_fma_f64 v[34:35], v[9:10], v[9:10], v[34:35]
	v_div_scale_f64 v[36:37], s[30:31], v[34:35], v[34:35], 1.0
	v_rcp_f64_e32 v[38:39], v[36:37]
	v_fma_f64 v[40:41], -v[36:37], v[38:39], 1.0
	v_fma_f64 v[38:39], v[38:39], v[40:41], v[38:39]
	v_div_scale_f64 v[40:41], vcc, 1.0, v[34:35], 1.0
	v_fma_f64 v[42:43], -v[36:37], v[38:39], 1.0
	v_fma_f64 v[38:39], v[38:39], v[42:43], v[38:39]
	v_mul_f64 v[42:43], v[40:41], v[38:39]
	v_fma_f64 v[36:37], -v[36:37], v[42:43], v[40:41]
	v_div_fmas_f64 v[36:37], v[36:37], v[38:39], v[42:43]
	v_mul_f64 v[38:39], v[7:8], v[11:12]
	v_mul_f64 v[11:12], v[11:12], -v[5:6]
	v_fma_f64 v[5:6], v[5:6], v[9:10], v[38:39]
	v_fma_f64 v[7:8], v[7:8], v[9:10], v[11:12]
	v_add_u32_e32 v9, v27, v22
	v_cmp_lt_i32_e32 vcc, v9, v33
	v_div_fixup_f64 v[34:35], v[36:37], v[34:35], 1.0
	v_mul_f64 v[5:6], v[5:6], v[34:35]
	v_mul_f64 v[7:8], v[7:8], v[34:35]
	global_store_dwordx4 v[20:21], v[5:8], off
	s_and_saveexec_b64 s[30:31], vcc
	s_cbranch_execz .LBB43_35
; %bb.41:                               ;   in Loop: Header=BB43_37 Depth=1
	s_mov_b64 s[34:35], 0
	s_branch .LBB43_43
.LBB43_42:                              ;   in Loop: Header=BB43_43 Depth=2
	s_or_b64 exec, exec, s[38:39]
	v_add_u32_e32 v9, 32, v9
	v_cmp_ge_i32_e32 vcc, v9, v33
	s_or_b64 s[34:35], vcc, s[34:35]
	s_andn2_b64 exec, exec, s[34:35]
	s_cbranch_execz .LBB43_35
.LBB43_43:                              ;   Parent Loop BB43_37 Depth=1
                                        ; =>  This Loop Header: Depth=2
                                        ;       Child Loop BB43_52 Depth 3
	v_ashrrev_i32_e32 v10, 31, v9
	v_lshlrev_b64 v[11:12], 2, v[9:10]
	s_mov_b64 s[40:41], 0
	v_add_co_u32_e32 v11, vcc, s14, v11
	v_addc_co_u32_e32 v12, vcc, v28, v12, vcc
	global_load_dword v11, v[11:12], off
	v_mov_b32_e32 v12, 0x100
                                        ; implicit-def: $sgpr38_sgpr39
                                        ; implicit-def: $sgpr42_sgpr43
                                        ; implicit-def: $sgpr44_sgpr45
	s_waitcnt vmcnt(0)
	v_mul_lo_u32 v21, v11, s11
	s_branch .LBB43_52
.LBB43_44:                              ;   in Loop: Header=BB43_52 Depth=3
	s_or_b64 exec, exec, s[64:65]
	s_orn2_b64 s[60:61], s[60:61], exec
	s_orn2_b64 s[62:63], s[62:63], exec
.LBB43_45:                              ;   in Loop: Header=BB43_52 Depth=3
	s_or_b64 exec, exec, s[58:59]
	s_and_b64 s[60:61], s[60:61], exec
	s_orn2_b64 s[58:59], s[62:63], exec
.LBB43_46:                              ;   in Loop: Header=BB43_52 Depth=3
	s_or_b64 exec, exec, s[56:57]
	s_orn2_b64 s[60:61], s[60:61], exec
	s_orn2_b64 s[56:57], s[58:59], exec
.LBB43_47:                              ;   in Loop: Header=BB43_52 Depth=3
	s_or_b64 exec, exec, s[54:55]
	s_and_b64 s[58:59], s[60:61], exec
	s_orn2_b64 s[54:55], s[56:57], exec
.LBB43_48:                              ;   in Loop: Header=BB43_52 Depth=3
	s_or_b64 exec, exec, s[52:53]
	s_orn2_b64 s[52:53], s[58:59], exec
	s_orn2_b64 s[54:55], s[54:55], exec
.LBB43_49:                              ;   in Loop: Header=BB43_52 Depth=3
	s_or_b64 exec, exec, s[50:51]
	s_and_b64 s[52:53], s[52:53], exec
	s_orn2_b64 s[50:51], s[54:55], exec
.LBB43_50:                              ;   in Loop: Header=BB43_52 Depth=3
	s_or_b64 exec, exec, s[48:49]
	s_andn2_b64 s[44:45], s[44:45], exec
	s_and_b64 s[48:49], s[52:53], exec
	s_or_b64 s[44:45], s[44:45], s[48:49]
	s_andn2_b64 s[42:43], s[42:43], exec
	s_and_b64 s[48:49], s[50:51], exec
	s_or_b64 s[42:43], s[42:43], s[48:49]
.LBB43_51:                              ;   in Loop: Header=BB43_52 Depth=3
	s_or_b64 exec, exec, s[46:47]
	s_and_b64 s[46:47], exec, s[42:43]
	s_or_b64 s[40:41], s[46:47], s[40:41]
	s_andn2_b64 s[38:39], s[38:39], exec
	s_and_b64 s[46:47], s[44:45], exec
	s_or_b64 s[38:39], s[38:39], s[46:47]
	s_andn2_b64 exec, exec, s[40:41]
	s_cbranch_execz .LBB43_61
.LBB43_52:                              ;   Parent Loop BB43_37 Depth=1
                                        ;     Parent Loop BB43_43 Depth=2
                                        ; =>    This Inner Loop Header: Depth=3
	v_and_b32_e32 v20, 0xff, v21
	v_lshl_add_u32 v22, v20, 2, v26
	ds_read_b32 v22, v22
	s_or_b64 s[44:45], s[44:45], exec
	s_or_b64 s[42:43], s[42:43], exec
	s_waitcnt lgkmcnt(0)
	v_cmp_ne_u32_e32 vcc, -1, v22
	s_and_saveexec_b64 s[46:47], vcc
	s_cbranch_execz .LBB43_51
; %bb.53:                               ;   in Loop: Header=BB43_52 Depth=3
	v_cmp_ne_u32_e32 vcc, v22, v11
	s_mov_b64 s[50:51], -1
	s_mov_b64 s[52:53], 0
	s_and_saveexec_b64 s[48:49], vcc
	s_cbranch_execz .LBB43_50
; %bb.54:                               ;   in Loop: Header=BB43_52 Depth=3
	v_add_u32_e32 v20, 1, v21
	v_and_b32_e32 v20, 0xff, v20
	v_lshl_add_u32 v22, v20, 2, v26
	ds_read_b32 v22, v22
	s_mov_b64 s[54:55], -1
	s_mov_b64 s[52:53], -1
	s_waitcnt lgkmcnt(0)
	v_cmp_ne_u32_e32 vcc, -1, v22
	s_and_saveexec_b64 s[50:51], vcc
	s_cbranch_execz .LBB43_49
; %bb.55:                               ;   in Loop: Header=BB43_52 Depth=3
	v_cmp_ne_u32_e32 vcc, v22, v11
	s_mov_b64 s[58:59], 0
	s_and_saveexec_b64 s[52:53], vcc
	s_cbranch_execz .LBB43_48
; %bb.56:                               ;   in Loop: Header=BB43_52 Depth=3
	v_add_u32_e32 v20, 2, v21
	v_and_b32_e32 v20, 0xff, v20
	v_lshl_add_u32 v22, v20, 2, v26
	ds_read_b32 v22, v22
	s_mov_b64 s[56:57], -1
	s_mov_b64 s[60:61], -1
	s_waitcnt lgkmcnt(0)
	v_cmp_ne_u32_e32 vcc, -1, v22
	s_and_saveexec_b64 s[54:55], vcc
	s_cbranch_execz .LBB43_47
; %bb.57:                               ;   in Loop: Header=BB43_52 Depth=3
	v_cmp_ne_u32_e32 vcc, v22, v11
	s_mov_b64 s[58:59], -1
	s_mov_b64 s[60:61], 0
	s_and_saveexec_b64 s[56:57], vcc
	s_cbranch_execz .LBB43_46
; %bb.58:                               ;   in Loop: Header=BB43_52 Depth=3
	v_add_u32_e32 v20, 3, v21
	v_and_b32_e32 v20, 0xff, v20
	v_lshl_add_u32 v21, v20, 2, v26
	ds_read_b32 v22, v21
	s_mov_b64 s[62:63], -1
	s_mov_b64 s[60:61], -1
                                        ; implicit-def: $vgpr21
	s_waitcnt lgkmcnt(0)
	v_cmp_ne_u32_e32 vcc, -1, v22
	s_and_saveexec_b64 s[58:59], vcc
	s_cbranch_execz .LBB43_45
; %bb.59:                               ;   in Loop: Header=BB43_52 Depth=3
	v_cmp_ne_u32_e32 vcc, v22, v11
	s_mov_b64 s[60:61], 0
                                        ; implicit-def: $vgpr21
	s_and_saveexec_b64 s[64:65], vcc
	s_cbranch_execz .LBB43_44
; %bb.60:                               ;   in Loop: Header=BB43_52 Depth=3
	v_add_u32_e32 v12, -4, v12
	v_cmp_eq_u32_e32 vcc, 0, v12
	s_mov_b64 s[60:61], exec
	v_add_u32_e32 v21, 1, v20
	s_orn2_b64 s[62:63], vcc, exec
	s_branch .LBB43_44
.LBB43_61:                              ;   in Loop: Header=BB43_43 Depth=2
	s_or_b64 exec, exec, s[40:41]
	s_xor_b64 s[38:39], s[38:39], -1
	s_and_saveexec_b64 s[40:41], s[38:39]
	s_xor_b64 s[38:39], exec, s[40:41]
	s_cbranch_execz .LBB43_42
; %bb.62:                               ;   in Loop: Header=BB43_43 Depth=2
	v_lshl_add_u32 v11, v20, 2, v0
	ds_read_b32 v11, v11
	v_lshlrev_b64 v[20:21], 4, v[9:10]
	v_add_co_u32_e32 v38, vcc, s16, v20
	s_waitcnt lgkmcnt(0)
	v_ashrrev_i32_e32 v12, 31, v11
	v_lshlrev_b64 v[10:11], 4, v[11:12]
	v_addc_co_u32_e32 v39, vcc, v29, v21, vcc
	v_add_co_u32_e32 v10, vcc, s16, v10
	v_addc_co_u32_e32 v11, vcc, v29, v11, vcc
	global_load_dwordx4 v[20:23], v[38:39], off
	global_load_dwordx4 v[34:37], v[10:11], off
	s_waitcnt vmcnt(0)
	v_fma_f64 v[34:35], -v[5:6], v[20:21], v[34:35]
	v_fma_f64 v[36:37], -v[7:8], v[20:21], v[36:37]
	v_fma_f64 v[20:21], v[7:8], v[22:23], v[34:35]
	v_fma_f64 v[22:23], -v[5:6], v[22:23], v[36:37]
	global_store_dwordx4 v[10:11], v[20:23], off
	s_branch .LBB43_42
.LBB43_63:
	s_or_b64 exec, exec, s[22:23]
	v_cmp_lt_i32_e32 vcc, -1, v18
	s_and_saveexec_b64 s[12:13], vcc
	s_cbranch_execz .LBB43_85
; %bb.64:
	v_mov_b32_e32 v19, 0
	v_lshlrev_b64 v[5:6], 4, v[18:19]
	v_mov_b32_e32 v0, s17
	v_add_co_u32_e32 v9, vcc, s16, v5
	v_addc_co_u32_e32 v10, vcc, v0, v6, vcc
	global_load_dwordx4 v[5:8], v[9:10], off
                                        ; implicit-def: $vgpr20_vgpr21
	s_waitcnt vmcnt(0)
	v_cmp_gt_f64_e32 vcc, 0, v[5:6]
	v_xor_b32_e32 v0, 0x80000000, v6
	v_xor_b32_e32 v18, 0x80000000, v8
	v_mov_b32_e32 v11, v5
	v_cndmask_b32_e32 v12, v6, v0, vcc
	v_cmp_gt_f64_e32 vcc, 0, v[7:8]
	v_cndmask_b32_e32 v19, v8, v18, vcc
	v_mov_b32_e32 v18, v7
	v_cmp_ngt_f64_e32 vcc, v[11:12], v[18:19]
	s_and_saveexec_b64 s[8:9], vcc
	s_xor_b64 s[8:9], exec, s[8:9]
	s_cbranch_execz .LBB43_68
; %bb.65:
	v_cmp_neq_f64_e32 vcc, 0, v[7:8]
	v_mov_b32_e32 v20, 0
	v_mov_b32_e32 v21, 0
	s_and_saveexec_b64 s[14:15], vcc
	s_cbranch_execz .LBB43_67
; %bb.66:
	v_div_scale_f64 v[20:21], s[16:17], v[18:19], v[18:19], v[11:12]
	s_mov_b32 s16, 0
	s_brev_b32 s17, 8
	v_mov_b32_e32 v0, 0x100
	v_rcp_f64_e32 v[22:23], v[20:21]
	v_fma_f64 v[26:27], -v[20:21], v[22:23], 1.0
	v_fma_f64 v[22:23], v[22:23], v[26:27], v[22:23]
	v_div_scale_f64 v[26:27], vcc, v[11:12], v[18:19], v[11:12]
	v_fma_f64 v[28:29], -v[20:21], v[22:23], 1.0
	v_fma_f64 v[22:23], v[22:23], v[28:29], v[22:23]
	v_mul_f64 v[28:29], v[26:27], v[22:23]
	v_fma_f64 v[20:21], -v[20:21], v[28:29], v[26:27]
	v_div_fmas_f64 v[20:21], v[20:21], v[22:23], v[28:29]
	v_div_fixup_f64 v[11:12], v[20:21], v[18:19], v[11:12]
	v_fma_f64 v[11:12], v[11:12], v[11:12], 1.0
	v_cmp_gt_f64_e32 vcc, s[16:17], v[11:12]
	v_cndmask_b32_e32 v0, 0, v0, vcc
	v_ldexp_f64 v[11:12], v[11:12], v0
	v_mov_b32_e32 v0, 0xffffff80
	v_cndmask_b32_e32 v0, 0, v0, vcc
	v_rsq_f64_e32 v[20:21], v[11:12]
	v_mul_f64 v[22:23], v[11:12], v[20:21]
	v_mul_f64 v[20:21], v[20:21], 0.5
	v_fma_f64 v[26:27], -v[20:21], v[22:23], 0.5
	v_fma_f64 v[22:23], v[22:23], v[26:27], v[22:23]
	v_fma_f64 v[20:21], v[20:21], v[26:27], v[20:21]
	v_fma_f64 v[26:27], -v[22:23], v[22:23], v[11:12]
	v_fma_f64 v[22:23], v[26:27], v[20:21], v[22:23]
	v_fma_f64 v[26:27], -v[22:23], v[22:23], v[11:12]
	v_fma_f64 v[20:21], v[26:27], v[20:21], v[22:23]
	v_mov_b32_e32 v22, 0x260
	v_cmp_class_f64_e32 vcc, v[11:12], v22
	v_ldexp_f64 v[20:21], v[20:21], v0
	v_cndmask_b32_e32 v12, v21, v12, vcc
	v_cndmask_b32_e32 v11, v20, v11, vcc
	v_mul_f64 v[20:21], v[18:19], v[11:12]
.LBB43_67:
	s_or_b64 exec, exec, s[14:15]
                                        ; implicit-def: $vgpr11_vgpr12
                                        ; implicit-def: $vgpr18_vgpr19
.LBB43_68:
	s_andn2_saveexec_b64 s[8:9], s[8:9]
	s_cbranch_execz .LBB43_70
; %bb.69:
	v_div_scale_f64 v[20:21], s[14:15], v[11:12], v[11:12], v[18:19]
	s_mov_b32 s14, 0
	s_brev_b32 s15, 8
	v_mov_b32_e32 v0, 0x100
	v_rcp_f64_e32 v[22:23], v[20:21]
	v_fma_f64 v[26:27], -v[20:21], v[22:23], 1.0
	v_fma_f64 v[22:23], v[22:23], v[26:27], v[22:23]
	v_div_scale_f64 v[26:27], vcc, v[18:19], v[11:12], v[18:19]
	v_fma_f64 v[28:29], -v[20:21], v[22:23], 1.0
	v_fma_f64 v[22:23], v[22:23], v[28:29], v[22:23]
	v_mul_f64 v[28:29], v[26:27], v[22:23]
	v_fma_f64 v[20:21], -v[20:21], v[28:29], v[26:27]
	v_div_fmas_f64 v[20:21], v[20:21], v[22:23], v[28:29]
	v_div_fixup_f64 v[18:19], v[20:21], v[11:12], v[18:19]
	v_fma_f64 v[18:19], v[18:19], v[18:19], 1.0
	v_cmp_gt_f64_e32 vcc, s[14:15], v[18:19]
	v_cndmask_b32_e32 v0, 0, v0, vcc
	v_ldexp_f64 v[18:19], v[18:19], v0
	v_mov_b32_e32 v0, 0xffffff80
	v_cndmask_b32_e32 v0, 0, v0, vcc
	v_rsq_f64_e32 v[20:21], v[18:19]
	v_mul_f64 v[22:23], v[18:19], v[20:21]
	v_mul_f64 v[20:21], v[20:21], 0.5
	v_fma_f64 v[26:27], -v[20:21], v[22:23], 0.5
	v_fma_f64 v[22:23], v[22:23], v[26:27], v[22:23]
	v_fma_f64 v[20:21], v[20:21], v[26:27], v[20:21]
	v_fma_f64 v[26:27], -v[22:23], v[22:23], v[18:19]
	v_fma_f64 v[22:23], v[26:27], v[20:21], v[22:23]
	v_fma_f64 v[26:27], -v[22:23], v[22:23], v[18:19]
	v_fma_f64 v[20:21], v[26:27], v[20:21], v[22:23]
	v_mov_b32_e32 v22, 0x260
	v_cmp_class_f64_e32 vcc, v[18:19], v22
	v_ldexp_f64 v[20:21], v[20:21], v0
	v_cndmask_b32_e32 v19, v21, v19, vcc
	v_cndmask_b32_e32 v18, v20, v18, vcc
	v_mul_f64 v[20:21], v[11:12], v[18:19]
.LBB43_70:
	s_or_b64 exec, exec, s[8:9]
	v_cmp_eq_u32_e64 s[8:9], 0, v24
	s_and_b64 vcc, exec, s[6:7]
	s_mov_b64 s[6:7], -1
	s_cbranch_vccnz .LBB43_74
; %bb.71:
	v_cvt_f64_f32_e32 v[11:12], v25
	s_cmp_eq_u64 s[36:37], 8
	s_cselect_b64 vcc, -1, 0
	v_cndmask_b32_e32 v12, v12, v16, vcc
	v_cndmask_b32_e32 v11, v11, v15, vcc
	v_cmp_le_f64_e32 vcc, v[20:21], v[11:12]
	s_and_b64 s[14:15], s[8:9], vcc
	s_and_saveexec_b64 s[6:7], s[14:15]
	s_cbranch_execz .LBB43_73
; %bb.72:
	global_store_dwordx4 v[9:10], v[1:4], off
	s_waitcnt vmcnt(0)
	buffer_wbinvl1_vol
.LBB43_73:
	s_or_b64 exec, exec, s[6:7]
	s_mov_b64 s[6:7], 0
.LBB43_74:
	s_andn2_b64 vcc, exec, s[6:7]
	s_cbranch_vccnz .LBB43_85
; %bb.75:
	s_load_dwordx2 s[4:5], s[4:5], 0x48
	v_add_u32_e32 v0, s10, v17
	s_waitcnt lgkmcnt(0)
	v_cmp_ge_f64_e32 vcc, s[4:5], v[20:21]
	s_and_b64 s[6:7], s[8:9], vcc
	s_and_saveexec_b64 s[4:5], s[6:7]
	s_cbranch_execz .LBB43_80
; %bb.76:
	s_mov_b64 s[6:7], exec
	s_brev_b32 s10, -2
.LBB43_77:                              ; =>This Inner Loop Header: Depth=1
	s_ff1_i32_b64 s11, s[6:7]
	v_readlane_b32 s16, v0, s11
	s_lshl_b64 s[14:15], 1, s11
	s_min_i32 s10, s10, s16
	s_andn2_b64 s[6:7], s[6:7], s[14:15]
	s_cmp_lg_u64 s[6:7], 0
	s_cbranch_scc1 .LBB43_77
; %bb.78:
	v_mbcnt_lo_u32_b32 v1, exec_lo, 0
	v_mbcnt_hi_u32_b32 v1, exec_hi, v1
	v_cmp_eq_u32_e32 vcc, 0, v1
	s_and_saveexec_b64 s[6:7], vcc
	s_xor_b64 s[6:7], exec, s[6:7]
	s_cbranch_execz .LBB43_80
; %bb.79:
	v_mov_b32_e32 v1, 0
	v_mov_b32_e32 v2, s10
	global_atomic_smin v1, v2, s[26:27]
.LBB43_80:
	s_or_b64 exec, exec, s[4:5]
	v_cmp_eq_f64_e32 vcc, 0, v[5:6]
	v_cmp_eq_f64_e64 s[4:5], 0, v[7:8]
	s_and_b64 s[4:5], vcc, s[4:5]
	s_and_b64 s[4:5], s[8:9], s[4:5]
	s_and_b64 exec, exec, s[4:5]
	s_cbranch_execz .LBB43_85
; %bb.81:
	s_mov_b64 s[4:5], exec
	s_brev_b32 s6, -2
.LBB43_82:                              ; =>This Inner Loop Header: Depth=1
	s_ff1_i32_b64 s7, s[4:5]
	v_readlane_b32 s10, v0, s7
	s_lshl_b64 s[8:9], 1, s7
	s_min_i32 s6, s6, s10
	s_andn2_b64 s[4:5], s[4:5], s[8:9]
	s_cmp_lg_u64 s[4:5], 0
	s_cbranch_scc1 .LBB43_82
; %bb.83:
	v_mbcnt_lo_u32_b32 v0, exec_lo, 0
	v_mbcnt_hi_u32_b32 v0, exec_hi, v0
	v_cmp_eq_u32_e32 vcc, 0, v0
	s_and_saveexec_b64 s[4:5], vcc
	s_xor_b64 s[4:5], exec, s[4:5]
	s_cbranch_execz .LBB43_85
; %bb.84:
	v_mov_b32_e32 v0, 0
	v_mov_b32_e32 v1, s6
	global_atomic_smin v0, v1, s[24:25]
.LBB43_85:
	s_or_b64 exec, exec, s[12:13]
	v_cmp_eq_u32_e32 vcc, 0, v24
	s_waitcnt vmcnt(0)
	buffer_wbinvl1_vol
	s_and_b64 exec, exec, vcc
	s_cbranch_execz .LBB43_87
; %bb.86:
	v_mov_b32_e32 v1, s21
	v_add_co_u32_e32 v0, vcc, s20, v13
	v_addc_co_u32_e32 v1, vcc, v1, v14, vcc
	v_mov_b32_e32 v2, 1
	global_store_dword v[0:1], v2, off
.LBB43_87:
	s_endpgm
	.section	.rodata,"a",@progbits
	.p2align	6, 0x0
	.amdhsa_kernel _ZN9rocsparseL12csrilu0_hashILj256ELj32ELj8E21rocsparse_complex_numIdEEEviPKiS4_PT2_S4_PiS4_S7_S7_d21rocsparse_index_base_imNS_24const_host_device_scalarIfEENS9_IdEENS9_IS5_EEb
		.amdhsa_group_segment_fixed_size 16384
		.amdhsa_private_segment_fixed_size 16
		.amdhsa_kernarg_size 132
		.amdhsa_user_sgpr_count 8
		.amdhsa_user_sgpr_private_segment_buffer 1
		.amdhsa_user_sgpr_dispatch_ptr 0
		.amdhsa_user_sgpr_queue_ptr 0
		.amdhsa_user_sgpr_kernarg_segment_ptr 1
		.amdhsa_user_sgpr_dispatch_id 0
		.amdhsa_user_sgpr_flat_scratch_init 1
		.amdhsa_user_sgpr_private_segment_size 0
		.amdhsa_uses_dynamic_stack 0
		.amdhsa_system_sgpr_private_segment_wavefront_offset 1
		.amdhsa_system_sgpr_workgroup_id_x 1
		.amdhsa_system_sgpr_workgroup_id_y 0
		.amdhsa_system_sgpr_workgroup_id_z 0
		.amdhsa_system_sgpr_workgroup_info 0
		.amdhsa_system_vgpr_workitem_id 0
		.amdhsa_next_free_vgpr 49
		.amdhsa_next_free_sgpr 96
		.amdhsa_reserve_vcc 1
		.amdhsa_reserve_flat_scratch 1
		.amdhsa_float_round_mode_32 0
		.amdhsa_float_round_mode_16_64 0
		.amdhsa_float_denorm_mode_32 3
		.amdhsa_float_denorm_mode_16_64 3
		.amdhsa_dx10_clamp 1
		.amdhsa_ieee_mode 1
		.amdhsa_fp16_overflow 0
		.amdhsa_exception_fp_ieee_invalid_op 0
		.amdhsa_exception_fp_denorm_src 0
		.amdhsa_exception_fp_ieee_div_zero 0
		.amdhsa_exception_fp_ieee_overflow 0
		.amdhsa_exception_fp_ieee_underflow 0
		.amdhsa_exception_fp_ieee_inexact 0
		.amdhsa_exception_int_div_zero 0
	.end_amdhsa_kernel
	.section	.text._ZN9rocsparseL12csrilu0_hashILj256ELj32ELj8E21rocsparse_complex_numIdEEEviPKiS4_PT2_S4_PiS4_S7_S7_d21rocsparse_index_base_imNS_24const_host_device_scalarIfEENS9_IdEENS9_IS5_EEb,"axG",@progbits,_ZN9rocsparseL12csrilu0_hashILj256ELj32ELj8E21rocsparse_complex_numIdEEEviPKiS4_PT2_S4_PiS4_S7_S7_d21rocsparse_index_base_imNS_24const_host_device_scalarIfEENS9_IdEENS9_IS5_EEb,comdat
.Lfunc_end43:
	.size	_ZN9rocsparseL12csrilu0_hashILj256ELj32ELj8E21rocsparse_complex_numIdEEEviPKiS4_PT2_S4_PiS4_S7_S7_d21rocsparse_index_base_imNS_24const_host_device_scalarIfEENS9_IdEENS9_IS5_EEb, .Lfunc_end43-_ZN9rocsparseL12csrilu0_hashILj256ELj32ELj8E21rocsparse_complex_numIdEEEviPKiS4_PT2_S4_PiS4_S7_S7_d21rocsparse_index_base_imNS_24const_host_device_scalarIfEENS9_IdEENS9_IS5_EEb
                                        ; -- End function
	.set _ZN9rocsparseL12csrilu0_hashILj256ELj32ELj8E21rocsparse_complex_numIdEEEviPKiS4_PT2_S4_PiS4_S7_S7_d21rocsparse_index_base_imNS_24const_host_device_scalarIfEENS9_IdEENS9_IS5_EEb.num_vgpr, 44
	.set _ZN9rocsparseL12csrilu0_hashILj256ELj32ELj8E21rocsparse_complex_numIdEEEviPKiS4_PT2_S4_PiS4_S7_S7_d21rocsparse_index_base_imNS_24const_host_device_scalarIfEENS9_IdEENS9_IS5_EEb.num_agpr, 0
	.set _ZN9rocsparseL12csrilu0_hashILj256ELj32ELj8E21rocsparse_complex_numIdEEEviPKiS4_PT2_S4_PiS4_S7_S7_d21rocsparse_index_base_imNS_24const_host_device_scalarIfEENS9_IdEENS9_IS5_EEb.numbered_sgpr, 66
	.set _ZN9rocsparseL12csrilu0_hashILj256ELj32ELj8E21rocsparse_complex_numIdEEEviPKiS4_PT2_S4_PiS4_S7_S7_d21rocsparse_index_base_imNS_24const_host_device_scalarIfEENS9_IdEENS9_IS5_EEb.num_named_barrier, 0
	.set _ZN9rocsparseL12csrilu0_hashILj256ELj32ELj8E21rocsparse_complex_numIdEEEviPKiS4_PT2_S4_PiS4_S7_S7_d21rocsparse_index_base_imNS_24const_host_device_scalarIfEENS9_IdEENS9_IS5_EEb.private_seg_size, 16
	.set _ZN9rocsparseL12csrilu0_hashILj256ELj32ELj8E21rocsparse_complex_numIdEEEviPKiS4_PT2_S4_PiS4_S7_S7_d21rocsparse_index_base_imNS_24const_host_device_scalarIfEENS9_IdEENS9_IS5_EEb.uses_vcc, 1
	.set _ZN9rocsparseL12csrilu0_hashILj256ELj32ELj8E21rocsparse_complex_numIdEEEviPKiS4_PT2_S4_PiS4_S7_S7_d21rocsparse_index_base_imNS_24const_host_device_scalarIfEENS9_IdEENS9_IS5_EEb.uses_flat_scratch, 1
	.set _ZN9rocsparseL12csrilu0_hashILj256ELj32ELj8E21rocsparse_complex_numIdEEEviPKiS4_PT2_S4_PiS4_S7_S7_d21rocsparse_index_base_imNS_24const_host_device_scalarIfEENS9_IdEENS9_IS5_EEb.has_dyn_sized_stack, 0
	.set _ZN9rocsparseL12csrilu0_hashILj256ELj32ELj8E21rocsparse_complex_numIdEEEviPKiS4_PT2_S4_PiS4_S7_S7_d21rocsparse_index_base_imNS_24const_host_device_scalarIfEENS9_IdEENS9_IS5_EEb.has_recursion, 0
	.set _ZN9rocsparseL12csrilu0_hashILj256ELj32ELj8E21rocsparse_complex_numIdEEEviPKiS4_PT2_S4_PiS4_S7_S7_d21rocsparse_index_base_imNS_24const_host_device_scalarIfEENS9_IdEENS9_IS5_EEb.has_indirect_call, 0
	.section	.AMDGPU.csdata,"",@progbits
; Kernel info:
; codeLenInByte = 3384
; TotalNumSgprs: 72
; NumVgprs: 44
; ScratchSize: 16
; MemoryBound: 0
; FloatMode: 240
; IeeeMode: 1
; LDSByteSize: 16384 bytes/workgroup (compile time only)
; SGPRBlocks: 12
; VGPRBlocks: 12
; NumSGPRsForWavesPerEU: 102
; NumVGPRsForWavesPerEU: 49
; Occupancy: 4
; WaveLimiterHint : 1
; COMPUTE_PGM_RSRC2:SCRATCH_EN: 1
; COMPUTE_PGM_RSRC2:USER_SGPR: 8
; COMPUTE_PGM_RSRC2:TRAP_HANDLER: 0
; COMPUTE_PGM_RSRC2:TGID_X_EN: 1
; COMPUTE_PGM_RSRC2:TGID_Y_EN: 0
; COMPUTE_PGM_RSRC2:TGID_Z_EN: 0
; COMPUTE_PGM_RSRC2:TIDIG_COMP_CNT: 0
	.section	.text._ZN9rocsparseL12csrilu0_hashILj256ELj32ELj16E21rocsparse_complex_numIdEEEviPKiS4_PT2_S4_PiS4_S7_S7_d21rocsparse_index_base_imNS_24const_host_device_scalarIfEENS9_IdEENS9_IS5_EEb,"axG",@progbits,_ZN9rocsparseL12csrilu0_hashILj256ELj32ELj16E21rocsparse_complex_numIdEEEviPKiS4_PT2_S4_PiS4_S7_S7_d21rocsparse_index_base_imNS_24const_host_device_scalarIfEENS9_IdEENS9_IS5_EEb,comdat
	.globl	_ZN9rocsparseL12csrilu0_hashILj256ELj32ELj16E21rocsparse_complex_numIdEEEviPKiS4_PT2_S4_PiS4_S7_S7_d21rocsparse_index_base_imNS_24const_host_device_scalarIfEENS9_IdEENS9_IS5_EEb ; -- Begin function _ZN9rocsparseL12csrilu0_hashILj256ELj32ELj16E21rocsparse_complex_numIdEEEviPKiS4_PT2_S4_PiS4_S7_S7_d21rocsparse_index_base_imNS_24const_host_device_scalarIfEENS9_IdEENS9_IS5_EEb
	.p2align	8
	.type	_ZN9rocsparseL12csrilu0_hashILj256ELj32ELj16E21rocsparse_complex_numIdEEEviPKiS4_PT2_S4_PiS4_S7_S7_d21rocsparse_index_base_imNS_24const_host_device_scalarIfEENS9_IdEENS9_IS5_EEb,@function
_ZN9rocsparseL12csrilu0_hashILj256ELj32ELj16E21rocsparse_complex_numIdEEEviPKiS4_PT2_S4_PiS4_S7_S7_d21rocsparse_index_base_imNS_24const_host_device_scalarIfEENS9_IdEENS9_IS5_EEb: ; @_ZN9rocsparseL12csrilu0_hashILj256ELj32ELj16E21rocsparse_complex_numIdEEEviPKiS4_PT2_S4_PiS4_S7_S7_d21rocsparse_index_base_imNS_24const_host_device_scalarIfEENS9_IdEENS9_IS5_EEb
; %bb.0:
	s_add_u32 flat_scratch_lo, s6, s9
	s_load_dword s6, s[4:5], 0x80
	s_load_dwordx8 s[36:43], s[4:5], 0x58
	s_load_dwordx2 s[12:13], s[4:5], 0x78
	s_load_dwordx2 s[10:11], s[4:5], 0x50
	s_addc_u32 flat_scratch_hi, s7, 0
	s_add_u32 s0, s0, s9
	s_addc_u32 s1, s1, 0
	s_waitcnt lgkmcnt(0)
	s_bitcmp1_b32 s6, 0
	s_cselect_b64 s[14:15], -1, 0
	s_cmp_eq_u32 s11, 0
	s_cselect_b64 s[20:21], -1, 0
	s_cmp_lg_u32 s11, 0
	s_cselect_b64 s[16:17], -1, 0
	s_or_b64 s[22:23], s[20:21], s[14:15]
	s_xor_b64 s[6:7], s[22:23], -1
	v_mov_b32_e32 v1, s43
	s_and_b64 s[18:19], s[20:21], exec
	buffer_store_dword v1, off, s[0:3], 0 offset:4
	v_mov_b32_e32 v1, s42
	s_cselect_b32 s19, 0, s41
	s_cselect_b32 s18, 0, s40
	s_and_b64 vcc, exec, s[22:23]
	buffer_store_dword v1, off, s[0:3], 0
	s_cbranch_vccnz .LBB44_2
; %bb.1:
	s_load_dword s9, s[38:39], 0x0
	s_mov_b64 s[18:19], s[40:41]
	s_waitcnt lgkmcnt(0)
	v_mov_b32_e32 v25, s9
	v_mov_b32_e32 v15, s18
	s_andn2_b64 vcc, exec, s[6:7]
	v_mov_b32_e32 v16, s19
	s_cbranch_vccz .LBB44_3
	s_branch .LBB44_4
.LBB44_2:
	v_mov_b32_e32 v1, s38
	v_cndmask_b32_e64 v25, v1, 0, s[20:21]
	v_mov_b32_e32 v15, s18
	s_andn2_b64 vcc, exec, s[6:7]
	v_mov_b32_e32 v16, s19
	s_cbranch_vccnz .LBB44_4
.LBB44_3:
	v_mov_b32_e32 v1, s40
	v_mov_b32_e32 v2, s41
	flat_load_dwordx2 v[15:16], v[1:2]
.LBB44_4:
	v_cndmask_b32_e64 v1, 0, 1, s[16:17]
	v_mov_b32_e32 v3, 0
	v_cmp_ne_u32_e64 s[6:7], 1, v1
	v_mov_b32_e32 v1, 0
	v_mov_b32_e32 v4, 0
	s_andn2_b64 vcc, exec, s[16:17]
	v_mov_b32_e32 v2, 0
	s_cbranch_vccnz .LBB44_7
; %bb.5:
	s_xor_b64 s[18:19], s[14:15], -1
	s_mov_b64 s[16:17], src_private_base
	s_and_b64 s[14:15], s[14:15], exec
	s_cselect_b32 s9, s17, s43
	s_cselect_b32 s11, 0, s42
	v_mov_b32_e32 v1, s11
	v_mov_b32_e32 v2, s9
	flat_load_dwordx2 v[1:2], v[1:2]
	v_mov_b32_e32 v3, s12
	s_andn2_b64 vcc, exec, s[18:19]
	v_mov_b32_e32 v4, s13
	s_cbranch_vccnz .LBB44_7
; %bb.6:
	v_mov_b32_e32 v3, s42
	v_mov_b32_e32 v4, s43
	flat_load_dwordx2 v[3:4], v[3:4] offset:8
.LBB44_7:
	v_and_b32_e32 v24, 31, v0
	v_lshrrev_b32_e32 v5, 5, v0
	v_lshlrev_b32_e32 v7, 11, v5
	v_lshlrev_b32_e32 v8, 2, v24
	s_movk_i32 s9, 0x4000
	v_or_b32_e32 v6, 0xffffffe0, v24
	v_or3_b32 v7, v7, v8, s9
	s_mov_b64 s[12:13], 0
	v_mov_b32_e32 v8, -1
	s_movk_i32 s9, 0x1df
.LBB44_8:                               ; =>This Inner Loop Header: Depth=1
	v_add_u32_e32 v6, 32, v6
	v_cmp_lt_u32_e32 vcc, s9, v6
	ds_write_b32 v7, v8
	s_or_b64 s[12:13], vcc, s[12:13]
	v_add_u32_e32 v7, 0x80, v7
	s_andn2_b64 exec, exec, s[12:13]
	s_cbranch_execnz .LBB44_8
; %bb.9:
	s_or_b64 exec, exec, s[12:13]
	s_load_dword s9, s[4:5], 0x0
	s_lshl_b32 s8, s8, 3
	s_and_b32 s8, s8, 0x7fffff8
	v_or_b32_e32 v5, s8, v5
	s_waitcnt lgkmcnt(0)
	v_cmp_gt_i32_e32 vcc, s9, v5
	s_and_saveexec_b64 s[8:9], vcc
	s_cbranch_execz .LBB44_87
; %bb.10:
	s_load_dwordx16 s[12:27], s[4:5], 0x8
	v_lshlrev_b32_e32 v5, 2, v5
	v_lshlrev_b32_e32 v0, 6, v0
	v_and_b32_e32 v0, 0x3800, v0
	v_or_b32_e32 v26, 0x4000, v0
	s_waitcnt lgkmcnt(0)
	global_load_dword v17, v5, s[22:23]
	v_mov_b32_e32 v6, s13
	v_mov_b32_e32 v8, s19
	s_waitcnt vmcnt(0)
	v_ashrrev_i32_e32 v18, 31, v17
	v_lshlrev_b64 v[13:14], 2, v[17:18]
	v_add_co_u32_e32 v5, vcc, s12, v13
	v_addc_co_u32_e32 v6, vcc, v6, v14, vcc
	global_load_dwordx2 v[5:6], v[5:6], off
	v_add_co_u32_e32 v7, vcc, s18, v13
	v_addc_co_u32_e32 v8, vcc, v8, v14, vcc
	global_load_dword v18, v[7:8], off
	s_waitcnt vmcnt(1)
	v_subrev_u32_e32 v19, s10, v5
	v_subrev_u32_e32 v7, s10, v6
	v_add_u32_e32 v5, v19, v24
	v_cmp_lt_i32_e32 vcc, v5, v7
	s_and_saveexec_b64 s[8:9], vcc
	s_cbranch_execz .LBB44_33
; %bb.11:
	s_mov_b64 s[22:23], 0
	v_mov_b32_e32 v8, s15
	s_movk_i32 s11, 0x67
	v_mov_b32_e32 v9, -1
	s_branch .LBB44_13
.LBB44_12:                              ;   in Loop: Header=BB44_13 Depth=1
	s_or_b64 exec, exec, s[28:29]
	v_add_u32_e32 v5, 32, v5
	v_cmp_ge_i32_e32 vcc, v5, v7
	s_or_b64 s[22:23], vcc, s[22:23]
	s_andn2_b64 exec, exec, s[22:23]
	s_cbranch_execz .LBB44_33
.LBB44_13:                              ; =>This Loop Header: Depth=1
                                        ;     Child Loop BB44_22 Depth 2
	v_ashrrev_i32_e32 v6, 31, v5
	v_lshlrev_b64 v[10:11], 2, v[5:6]
	s_mov_b64 s[30:31], 0
	v_add_co_u32_e32 v10, vcc, s14, v10
	v_addc_co_u32_e32 v11, vcc, v8, v11, vcc
	global_load_dword v6, v[10:11], off
	v_mov_b32_e32 v10, 0x200
                                        ; implicit-def: $sgpr28_sgpr29
                                        ; implicit-def: $sgpr34_sgpr35
                                        ; implicit-def: $sgpr38_sgpr39
	s_waitcnt vmcnt(0)
	v_mul_lo_u32 v12, v6, s11
	s_branch .LBB44_22
.LBB44_14:                              ;   in Loop: Header=BB44_22 Depth=2
	s_or_b64 exec, exec, s[58:59]
	s_orn2_b64 s[54:55], s[54:55], exec
	s_orn2_b64 s[56:57], s[56:57], exec
.LBB44_15:                              ;   in Loop: Header=BB44_22 Depth=2
	s_or_b64 exec, exec, s[52:53]
	s_and_b64 s[54:55], s[54:55], exec
	s_orn2_b64 s[52:53], s[56:57], exec
.LBB44_16:                              ;   in Loop: Header=BB44_22 Depth=2
	s_or_b64 exec, exec, s[50:51]
	s_orn2_b64 s[54:55], s[54:55], exec
	s_orn2_b64 s[50:51], s[52:53], exec
.LBB44_17:                              ;   in Loop: Header=BB44_22 Depth=2
	s_or_b64 exec, exec, s[48:49]
	s_and_b64 s[52:53], s[54:55], exec
	s_orn2_b64 s[48:49], s[50:51], exec
.LBB44_18:                              ;   in Loop: Header=BB44_22 Depth=2
	s_or_b64 exec, exec, s[46:47]
	s_orn2_b64 s[46:47], s[52:53], exec
	s_orn2_b64 s[48:49], s[48:49], exec
.LBB44_19:                              ;   in Loop: Header=BB44_22 Depth=2
	s_or_b64 exec, exec, s[44:45]
	s_and_b64 s[46:47], s[46:47], exec
	s_orn2_b64 s[44:45], s[48:49], exec
.LBB44_20:                              ;   in Loop: Header=BB44_22 Depth=2
	s_or_b64 exec, exec, s[42:43]
	s_andn2_b64 s[38:39], s[38:39], exec
	s_and_b64 s[42:43], s[46:47], exec
	s_or_b64 s[38:39], s[38:39], s[42:43]
	s_andn2_b64 s[34:35], s[34:35], exec
	s_and_b64 s[42:43], s[44:45], exec
	s_or_b64 s[34:35], s[34:35], s[42:43]
.LBB44_21:                              ;   in Loop: Header=BB44_22 Depth=2
	s_or_b64 exec, exec, s[40:41]
	s_and_b64 s[40:41], exec, s[34:35]
	s_or_b64 s[30:31], s[40:41], s[30:31]
	s_andn2_b64 s[28:29], s[28:29], exec
	s_and_b64 s[40:41], s[38:39], exec
	s_or_b64 s[28:29], s[28:29], s[40:41]
	s_andn2_b64 exec, exec, s[30:31]
	s_cbranch_execz .LBB44_31
.LBB44_22:                              ;   Parent Loop BB44_13 Depth=1
                                        ; =>  This Inner Loop Header: Depth=2
	v_and_b32_e32 v11, 0x1ff, v12
	v_lshl_add_u32 v20, v11, 2, v26
	ds_read_b32 v21, v20
	s_or_b64 s[38:39], s[38:39], exec
	s_or_b64 s[34:35], s[34:35], exec
	s_waitcnt lgkmcnt(0)
	v_cmp_ne_u32_e32 vcc, v21, v6
	s_and_saveexec_b64 s[40:41], vcc
	s_cbranch_execz .LBB44_21
; %bb.23:                               ;   in Loop: Header=BB44_22 Depth=2
	ds_cmpst_rtn_b32 v20, v20, v9, v6
	s_mov_b64 s[44:45], -1
	s_mov_b64 s[46:47], 0
	s_waitcnt lgkmcnt(0)
	v_cmp_ne_u32_e32 vcc, -1, v20
	s_and_saveexec_b64 s[42:43], vcc
	s_cbranch_execz .LBB44_20
; %bb.24:                               ;   in Loop: Header=BB44_22 Depth=2
	v_add_u32_e32 v11, 1, v12
	v_and_b32_e32 v11, 0x1ff, v11
	v_lshl_add_u32 v20, v11, 2, v26
	ds_read_b32 v21, v20
	s_mov_b64 s[48:49], -1
	s_mov_b64 s[46:47], -1
	s_waitcnt lgkmcnt(0)
	v_cmp_ne_u32_e32 vcc, v21, v6
	s_and_saveexec_b64 s[44:45], vcc
	s_cbranch_execz .LBB44_19
; %bb.25:                               ;   in Loop: Header=BB44_22 Depth=2
	ds_cmpst_rtn_b32 v20, v20, v9, v6
	s_mov_b64 s[52:53], 0
	s_waitcnt lgkmcnt(0)
	v_cmp_ne_u32_e32 vcc, -1, v20
	s_and_saveexec_b64 s[46:47], vcc
	s_cbranch_execz .LBB44_18
; %bb.26:                               ;   in Loop: Header=BB44_22 Depth=2
	v_add_u32_e32 v11, 2, v12
	v_and_b32_e32 v11, 0x1ff, v11
	v_lshl_add_u32 v20, v11, 2, v26
	ds_read_b32 v21, v20
	s_mov_b64 s[50:51], -1
	s_mov_b64 s[54:55], -1
	s_waitcnt lgkmcnt(0)
	v_cmp_ne_u32_e32 vcc, v21, v6
	s_and_saveexec_b64 s[48:49], vcc
	s_cbranch_execz .LBB44_17
; %bb.27:                               ;   in Loop: Header=BB44_22 Depth=2
	ds_cmpst_rtn_b32 v20, v20, v9, v6
	s_mov_b64 s[52:53], -1
	s_mov_b64 s[54:55], 0
	s_waitcnt lgkmcnt(0)
	v_cmp_ne_u32_e32 vcc, -1, v20
	s_and_saveexec_b64 s[50:51], vcc
	s_cbranch_execz .LBB44_16
; %bb.28:                               ;   in Loop: Header=BB44_22 Depth=2
	v_add_u32_e32 v11, 3, v12
	v_and_b32_e32 v11, 0x1ff, v11
	v_lshl_add_u32 v20, v11, 2, v26
	ds_read_b32 v12, v20
	s_mov_b64 s[56:57], -1
	s_mov_b64 s[54:55], -1
	s_waitcnt lgkmcnt(0)
	v_cmp_ne_u32_e32 vcc, v12, v6
                                        ; implicit-def: $vgpr12
	s_and_saveexec_b64 s[52:53], vcc
	s_cbranch_execz .LBB44_15
; %bb.29:                               ;   in Loop: Header=BB44_22 Depth=2
	ds_cmpst_rtn_b32 v12, v20, v9, v6
	s_mov_b64 s[54:55], 0
	s_waitcnt lgkmcnt(0)
	v_cmp_ne_u32_e32 vcc, -1, v12
                                        ; implicit-def: $vgpr12
	s_and_saveexec_b64 s[58:59], vcc
	s_cbranch_execz .LBB44_14
; %bb.30:                               ;   in Loop: Header=BB44_22 Depth=2
	v_add_u32_e32 v10, -4, v10
	v_cmp_eq_u32_e32 vcc, 0, v10
	s_mov_b64 s[54:55], exec
	v_add_u32_e32 v12, 1, v11
	s_orn2_b64 s[56:57], vcc, exec
	s_branch .LBB44_14
.LBB44_31:                              ;   in Loop: Header=BB44_13 Depth=1
	s_or_b64 exec, exec, s[30:31]
	s_xor_b64 s[28:29], s[28:29], -1
	s_and_saveexec_b64 s[30:31], s[28:29]
	s_xor_b64 s[28:29], exec, s[30:31]
	s_cbranch_execz .LBB44_12
; %bb.32:                               ;   in Loop: Header=BB44_13 Depth=1
	v_lshl_add_u32 v6, v11, 2, v0
	ds_write_b32 v6, v5
	s_branch .LBB44_12
.LBB44_33:
	s_or_b64 exec, exec, s[8:9]
	s_waitcnt vmcnt(0)
	v_cmp_lt_i32_e32 vcc, v19, v18
	s_waitcnt lgkmcnt(0)
	s_and_saveexec_b64 s[22:23], vcc
	s_cbranch_execz .LBB44_63
; %bb.34:
	v_add_u32_e32 v27, 1, v24
	s_mov_b64 s[28:29], 0
	v_mov_b32_e32 v28, s15
	v_mov_b32_e32 v29, s17
	;; [unrolled: 1-line block ×5, first 2 shown]
	s_movk_i32 s11, 0x67
	s_branch .LBB44_37
.LBB44_35:                              ;   in Loop: Header=BB44_37 Depth=1
	s_or_b64 exec, exec, s[30:31]
	v_add_u32_e32 v19, 1, v19
	v_cmp_ge_i32_e32 vcc, v19, v18
	s_orn2_b64 s[30:31], vcc, exec
.LBB44_36:                              ;   in Loop: Header=BB44_37 Depth=1
	s_or_b64 exec, exec, s[8:9]
	s_and_b64 s[8:9], exec, s[30:31]
	s_or_b64 s[28:29], s[8:9], s[28:29]
	s_andn2_b64 exec, exec, s[28:29]
	s_cbranch_execz .LBB44_63
.LBB44_37:                              ; =>This Loop Header: Depth=1
                                        ;     Child Loop BB44_38 Depth 2
                                        ;     Child Loop BB44_43 Depth 2
                                        ;       Child Loop BB44_52 Depth 3
	v_ashrrev_i32_e32 v20, 31, v19
	v_lshlrev_b64 v[5:6], 2, v[19:20]
	s_mov_b64 s[8:9], 0
	v_add_co_u32_e32 v5, vcc, s14, v5
	v_addc_co_u32_e32 v6, vcc, v28, v6, vcc
	global_load_dword v9, v[5:6], off
	v_lshlrev_b64 v[5:6], 4, v[19:20]
	v_add_co_u32_e32 v20, vcc, s16, v5
	v_addc_co_u32_e32 v21, vcc, v29, v6, vcc
	global_load_dwordx4 v[5:8], v[20:21], off
	s_waitcnt vmcnt(1)
	v_subrev_u32_e32 v9, s10, v9
	v_ashrrev_i32_e32 v10, 31, v9
	v_lshlrev_b64 v[9:10], 2, v[9:10]
	v_add_co_u32_e32 v22, vcc, s12, v9
	v_addc_co_u32_e32 v23, vcc, v30, v10, vcc
	v_add_co_u32_e32 v33, vcc, s18, v9
	v_addc_co_u32_e32 v34, vcc, v31, v10, vcc
	global_load_dword v11, v[22:23], off offset:4
	global_load_dword v12, v[33:34], off
	v_add_co_u32_e32 v9, vcc, s20, v9
	v_addc_co_u32_e32 v10, vcc, v32, v10, vcc
.LBB44_38:                              ;   Parent Loop BB44_37 Depth=1
                                        ; =>  This Inner Loop Header: Depth=2
	global_load_dword v22, v[9:10], off glc
	s_waitcnt vmcnt(0)
	v_cmp_ne_u32_e32 vcc, 0, v22
	s_or_b64 s[8:9], vcc, s[8:9]
	s_andn2_b64 exec, exec, s[8:9]
	s_cbranch_execnz .LBB44_38
; %bb.39:                               ;   in Loop: Header=BB44_37 Depth=1
	s_or_b64 exec, exec, s[8:9]
	v_subrev_u32_e32 v33, s10, v11
	v_add_u32_e32 v9, -1, v33
	v_cmp_eq_u32_e32 vcc, -1, v12
	v_cndmask_b32_e32 v22, v12, v9, vcc
	v_ashrrev_i32_e32 v23, 31, v22
	v_lshlrev_b64 v[9:10], 4, v[22:23]
	buffer_wbinvl1_vol
	v_add_co_u32_e32 v9, vcc, s16, v9
	v_addc_co_u32_e32 v10, vcc, v29, v10, vcc
	global_load_dwordx4 v[9:12], v[9:10], off
	s_mov_b64 s[30:31], -1
	s_waitcnt vmcnt(0)
	v_cmp_neq_f64_e32 vcc, 0, v[9:10]
	v_cmp_neq_f64_e64 s[8:9], 0, v[11:12]
	s_or_b64 s[34:35], vcc, s[8:9]
	s_and_saveexec_b64 s[8:9], s[34:35]
	s_cbranch_execz .LBB44_36
; %bb.40:                               ;   in Loop: Header=BB44_37 Depth=1
	v_mul_f64 v[34:35], v[11:12], v[11:12]
	v_fma_f64 v[34:35], v[9:10], v[9:10], v[34:35]
	v_div_scale_f64 v[36:37], s[30:31], v[34:35], v[34:35], 1.0
	v_rcp_f64_e32 v[38:39], v[36:37]
	v_fma_f64 v[40:41], -v[36:37], v[38:39], 1.0
	v_fma_f64 v[38:39], v[38:39], v[40:41], v[38:39]
	v_div_scale_f64 v[40:41], vcc, 1.0, v[34:35], 1.0
	v_fma_f64 v[42:43], -v[36:37], v[38:39], 1.0
	v_fma_f64 v[38:39], v[38:39], v[42:43], v[38:39]
	v_mul_f64 v[42:43], v[40:41], v[38:39]
	v_fma_f64 v[36:37], -v[36:37], v[42:43], v[40:41]
	v_div_fmas_f64 v[36:37], v[36:37], v[38:39], v[42:43]
	v_mul_f64 v[38:39], v[7:8], v[11:12]
	v_mul_f64 v[11:12], v[11:12], -v[5:6]
	v_fma_f64 v[5:6], v[5:6], v[9:10], v[38:39]
	v_fma_f64 v[7:8], v[7:8], v[9:10], v[11:12]
	v_add_u32_e32 v9, v27, v22
	v_cmp_lt_i32_e32 vcc, v9, v33
	v_div_fixup_f64 v[34:35], v[36:37], v[34:35], 1.0
	v_mul_f64 v[5:6], v[5:6], v[34:35]
	v_mul_f64 v[7:8], v[7:8], v[34:35]
	global_store_dwordx4 v[20:21], v[5:8], off
	s_and_saveexec_b64 s[30:31], vcc
	s_cbranch_execz .LBB44_35
; %bb.41:                               ;   in Loop: Header=BB44_37 Depth=1
	s_mov_b64 s[34:35], 0
	s_branch .LBB44_43
.LBB44_42:                              ;   in Loop: Header=BB44_43 Depth=2
	s_or_b64 exec, exec, s[38:39]
	v_add_u32_e32 v9, 32, v9
	v_cmp_ge_i32_e32 vcc, v9, v33
	s_or_b64 s[34:35], vcc, s[34:35]
	s_andn2_b64 exec, exec, s[34:35]
	s_cbranch_execz .LBB44_35
.LBB44_43:                              ;   Parent Loop BB44_37 Depth=1
                                        ; =>  This Loop Header: Depth=2
                                        ;       Child Loop BB44_52 Depth 3
	v_ashrrev_i32_e32 v10, 31, v9
	v_lshlrev_b64 v[11:12], 2, v[9:10]
	s_mov_b64 s[40:41], 0
	v_add_co_u32_e32 v11, vcc, s14, v11
	v_addc_co_u32_e32 v12, vcc, v28, v12, vcc
	global_load_dword v11, v[11:12], off
	v_mov_b32_e32 v12, 0x200
                                        ; implicit-def: $sgpr38_sgpr39
                                        ; implicit-def: $sgpr42_sgpr43
                                        ; implicit-def: $sgpr44_sgpr45
	s_waitcnt vmcnt(0)
	v_mul_lo_u32 v21, v11, s11
	s_branch .LBB44_52
.LBB44_44:                              ;   in Loop: Header=BB44_52 Depth=3
	s_or_b64 exec, exec, s[64:65]
	s_orn2_b64 s[60:61], s[60:61], exec
	s_orn2_b64 s[62:63], s[62:63], exec
.LBB44_45:                              ;   in Loop: Header=BB44_52 Depth=3
	s_or_b64 exec, exec, s[58:59]
	s_and_b64 s[60:61], s[60:61], exec
	s_orn2_b64 s[58:59], s[62:63], exec
.LBB44_46:                              ;   in Loop: Header=BB44_52 Depth=3
	s_or_b64 exec, exec, s[56:57]
	s_orn2_b64 s[60:61], s[60:61], exec
	s_orn2_b64 s[56:57], s[58:59], exec
.LBB44_47:                              ;   in Loop: Header=BB44_52 Depth=3
	s_or_b64 exec, exec, s[54:55]
	s_and_b64 s[58:59], s[60:61], exec
	s_orn2_b64 s[54:55], s[56:57], exec
.LBB44_48:                              ;   in Loop: Header=BB44_52 Depth=3
	s_or_b64 exec, exec, s[52:53]
	s_orn2_b64 s[52:53], s[58:59], exec
	s_orn2_b64 s[54:55], s[54:55], exec
.LBB44_49:                              ;   in Loop: Header=BB44_52 Depth=3
	s_or_b64 exec, exec, s[50:51]
	s_and_b64 s[52:53], s[52:53], exec
	s_orn2_b64 s[50:51], s[54:55], exec
.LBB44_50:                              ;   in Loop: Header=BB44_52 Depth=3
	s_or_b64 exec, exec, s[48:49]
	s_andn2_b64 s[44:45], s[44:45], exec
	s_and_b64 s[48:49], s[52:53], exec
	s_or_b64 s[44:45], s[44:45], s[48:49]
	s_andn2_b64 s[42:43], s[42:43], exec
	s_and_b64 s[48:49], s[50:51], exec
	s_or_b64 s[42:43], s[42:43], s[48:49]
.LBB44_51:                              ;   in Loop: Header=BB44_52 Depth=3
	s_or_b64 exec, exec, s[46:47]
	s_and_b64 s[46:47], exec, s[42:43]
	s_or_b64 s[40:41], s[46:47], s[40:41]
	s_andn2_b64 s[38:39], s[38:39], exec
	s_and_b64 s[46:47], s[44:45], exec
	s_or_b64 s[38:39], s[38:39], s[46:47]
	s_andn2_b64 exec, exec, s[40:41]
	s_cbranch_execz .LBB44_61
.LBB44_52:                              ;   Parent Loop BB44_37 Depth=1
                                        ;     Parent Loop BB44_43 Depth=2
                                        ; =>    This Inner Loop Header: Depth=3
	v_and_b32_e32 v20, 0x1ff, v21
	v_lshl_add_u32 v22, v20, 2, v26
	ds_read_b32 v22, v22
	s_or_b64 s[44:45], s[44:45], exec
	s_or_b64 s[42:43], s[42:43], exec
	s_waitcnt lgkmcnt(0)
	v_cmp_ne_u32_e32 vcc, -1, v22
	s_and_saveexec_b64 s[46:47], vcc
	s_cbranch_execz .LBB44_51
; %bb.53:                               ;   in Loop: Header=BB44_52 Depth=3
	v_cmp_ne_u32_e32 vcc, v22, v11
	s_mov_b64 s[50:51], -1
	s_mov_b64 s[52:53], 0
	s_and_saveexec_b64 s[48:49], vcc
	s_cbranch_execz .LBB44_50
; %bb.54:                               ;   in Loop: Header=BB44_52 Depth=3
	v_add_u32_e32 v20, 1, v21
	v_and_b32_e32 v20, 0x1ff, v20
	v_lshl_add_u32 v22, v20, 2, v26
	ds_read_b32 v22, v22
	s_mov_b64 s[54:55], -1
	s_mov_b64 s[52:53], -1
	s_waitcnt lgkmcnt(0)
	v_cmp_ne_u32_e32 vcc, -1, v22
	s_and_saveexec_b64 s[50:51], vcc
	s_cbranch_execz .LBB44_49
; %bb.55:                               ;   in Loop: Header=BB44_52 Depth=3
	v_cmp_ne_u32_e32 vcc, v22, v11
	s_mov_b64 s[58:59], 0
	s_and_saveexec_b64 s[52:53], vcc
	s_cbranch_execz .LBB44_48
; %bb.56:                               ;   in Loop: Header=BB44_52 Depth=3
	v_add_u32_e32 v20, 2, v21
	v_and_b32_e32 v20, 0x1ff, v20
	v_lshl_add_u32 v22, v20, 2, v26
	ds_read_b32 v22, v22
	s_mov_b64 s[56:57], -1
	s_mov_b64 s[60:61], -1
	s_waitcnt lgkmcnt(0)
	v_cmp_ne_u32_e32 vcc, -1, v22
	s_and_saveexec_b64 s[54:55], vcc
	s_cbranch_execz .LBB44_47
; %bb.57:                               ;   in Loop: Header=BB44_52 Depth=3
	v_cmp_ne_u32_e32 vcc, v22, v11
	s_mov_b64 s[58:59], -1
	s_mov_b64 s[60:61], 0
	s_and_saveexec_b64 s[56:57], vcc
	s_cbranch_execz .LBB44_46
; %bb.58:                               ;   in Loop: Header=BB44_52 Depth=3
	v_add_u32_e32 v20, 3, v21
	v_and_b32_e32 v20, 0x1ff, v20
	v_lshl_add_u32 v21, v20, 2, v26
	ds_read_b32 v22, v21
	s_mov_b64 s[62:63], -1
	s_mov_b64 s[60:61], -1
                                        ; implicit-def: $vgpr21
	s_waitcnt lgkmcnt(0)
	v_cmp_ne_u32_e32 vcc, -1, v22
	s_and_saveexec_b64 s[58:59], vcc
	s_cbranch_execz .LBB44_45
; %bb.59:                               ;   in Loop: Header=BB44_52 Depth=3
	v_cmp_ne_u32_e32 vcc, v22, v11
	s_mov_b64 s[60:61], 0
                                        ; implicit-def: $vgpr21
	s_and_saveexec_b64 s[64:65], vcc
	s_cbranch_execz .LBB44_44
; %bb.60:                               ;   in Loop: Header=BB44_52 Depth=3
	v_add_u32_e32 v12, -4, v12
	v_cmp_eq_u32_e32 vcc, 0, v12
	s_mov_b64 s[60:61], exec
	v_add_u32_e32 v21, 1, v20
	s_orn2_b64 s[62:63], vcc, exec
	s_branch .LBB44_44
.LBB44_61:                              ;   in Loop: Header=BB44_43 Depth=2
	s_or_b64 exec, exec, s[40:41]
	s_xor_b64 s[38:39], s[38:39], -1
	s_and_saveexec_b64 s[40:41], s[38:39]
	s_xor_b64 s[38:39], exec, s[40:41]
	s_cbranch_execz .LBB44_42
; %bb.62:                               ;   in Loop: Header=BB44_43 Depth=2
	v_lshl_add_u32 v11, v20, 2, v0
	ds_read_b32 v11, v11
	v_lshlrev_b64 v[20:21], 4, v[9:10]
	v_add_co_u32_e32 v38, vcc, s16, v20
	s_waitcnt lgkmcnt(0)
	v_ashrrev_i32_e32 v12, 31, v11
	v_lshlrev_b64 v[10:11], 4, v[11:12]
	v_addc_co_u32_e32 v39, vcc, v29, v21, vcc
	v_add_co_u32_e32 v10, vcc, s16, v10
	v_addc_co_u32_e32 v11, vcc, v29, v11, vcc
	global_load_dwordx4 v[20:23], v[38:39], off
	global_load_dwordx4 v[34:37], v[10:11], off
	s_waitcnt vmcnt(0)
	v_fma_f64 v[34:35], -v[5:6], v[20:21], v[34:35]
	v_fma_f64 v[36:37], -v[7:8], v[20:21], v[36:37]
	v_fma_f64 v[20:21], v[7:8], v[22:23], v[34:35]
	v_fma_f64 v[22:23], -v[5:6], v[22:23], v[36:37]
	global_store_dwordx4 v[10:11], v[20:23], off
	s_branch .LBB44_42
.LBB44_63:
	s_or_b64 exec, exec, s[22:23]
	v_cmp_lt_i32_e32 vcc, -1, v18
	s_and_saveexec_b64 s[12:13], vcc
	s_cbranch_execz .LBB44_85
; %bb.64:
	v_mov_b32_e32 v19, 0
	v_lshlrev_b64 v[5:6], 4, v[18:19]
	v_mov_b32_e32 v0, s17
	v_add_co_u32_e32 v9, vcc, s16, v5
	v_addc_co_u32_e32 v10, vcc, v0, v6, vcc
	global_load_dwordx4 v[5:8], v[9:10], off
                                        ; implicit-def: $vgpr20_vgpr21
	s_waitcnt vmcnt(0)
	v_cmp_gt_f64_e32 vcc, 0, v[5:6]
	v_xor_b32_e32 v0, 0x80000000, v6
	v_xor_b32_e32 v18, 0x80000000, v8
	v_mov_b32_e32 v11, v5
	v_cndmask_b32_e32 v12, v6, v0, vcc
	v_cmp_gt_f64_e32 vcc, 0, v[7:8]
	v_cndmask_b32_e32 v19, v8, v18, vcc
	v_mov_b32_e32 v18, v7
	v_cmp_ngt_f64_e32 vcc, v[11:12], v[18:19]
	s_and_saveexec_b64 s[8:9], vcc
	s_xor_b64 s[8:9], exec, s[8:9]
	s_cbranch_execz .LBB44_68
; %bb.65:
	v_cmp_neq_f64_e32 vcc, 0, v[7:8]
	v_mov_b32_e32 v20, 0
	v_mov_b32_e32 v21, 0
	s_and_saveexec_b64 s[14:15], vcc
	s_cbranch_execz .LBB44_67
; %bb.66:
	v_div_scale_f64 v[20:21], s[16:17], v[18:19], v[18:19], v[11:12]
	s_mov_b32 s16, 0
	s_brev_b32 s17, 8
	v_mov_b32_e32 v0, 0x100
	v_rcp_f64_e32 v[22:23], v[20:21]
	v_fma_f64 v[26:27], -v[20:21], v[22:23], 1.0
	v_fma_f64 v[22:23], v[22:23], v[26:27], v[22:23]
	v_div_scale_f64 v[26:27], vcc, v[11:12], v[18:19], v[11:12]
	v_fma_f64 v[28:29], -v[20:21], v[22:23], 1.0
	v_fma_f64 v[22:23], v[22:23], v[28:29], v[22:23]
	v_mul_f64 v[28:29], v[26:27], v[22:23]
	v_fma_f64 v[20:21], -v[20:21], v[28:29], v[26:27]
	v_div_fmas_f64 v[20:21], v[20:21], v[22:23], v[28:29]
	v_div_fixup_f64 v[11:12], v[20:21], v[18:19], v[11:12]
	v_fma_f64 v[11:12], v[11:12], v[11:12], 1.0
	v_cmp_gt_f64_e32 vcc, s[16:17], v[11:12]
	v_cndmask_b32_e32 v0, 0, v0, vcc
	v_ldexp_f64 v[11:12], v[11:12], v0
	v_mov_b32_e32 v0, 0xffffff80
	v_cndmask_b32_e32 v0, 0, v0, vcc
	v_rsq_f64_e32 v[20:21], v[11:12]
	v_mul_f64 v[22:23], v[11:12], v[20:21]
	v_mul_f64 v[20:21], v[20:21], 0.5
	v_fma_f64 v[26:27], -v[20:21], v[22:23], 0.5
	v_fma_f64 v[22:23], v[22:23], v[26:27], v[22:23]
	v_fma_f64 v[20:21], v[20:21], v[26:27], v[20:21]
	v_fma_f64 v[26:27], -v[22:23], v[22:23], v[11:12]
	v_fma_f64 v[22:23], v[26:27], v[20:21], v[22:23]
	v_fma_f64 v[26:27], -v[22:23], v[22:23], v[11:12]
	v_fma_f64 v[20:21], v[26:27], v[20:21], v[22:23]
	v_mov_b32_e32 v22, 0x260
	v_cmp_class_f64_e32 vcc, v[11:12], v22
	v_ldexp_f64 v[20:21], v[20:21], v0
	v_cndmask_b32_e32 v12, v21, v12, vcc
	v_cndmask_b32_e32 v11, v20, v11, vcc
	v_mul_f64 v[20:21], v[18:19], v[11:12]
.LBB44_67:
	s_or_b64 exec, exec, s[14:15]
                                        ; implicit-def: $vgpr11_vgpr12
                                        ; implicit-def: $vgpr18_vgpr19
.LBB44_68:
	s_andn2_saveexec_b64 s[8:9], s[8:9]
	s_cbranch_execz .LBB44_70
; %bb.69:
	v_div_scale_f64 v[20:21], s[14:15], v[11:12], v[11:12], v[18:19]
	s_mov_b32 s14, 0
	s_brev_b32 s15, 8
	v_mov_b32_e32 v0, 0x100
	v_rcp_f64_e32 v[22:23], v[20:21]
	v_fma_f64 v[26:27], -v[20:21], v[22:23], 1.0
	v_fma_f64 v[22:23], v[22:23], v[26:27], v[22:23]
	v_div_scale_f64 v[26:27], vcc, v[18:19], v[11:12], v[18:19]
	v_fma_f64 v[28:29], -v[20:21], v[22:23], 1.0
	v_fma_f64 v[22:23], v[22:23], v[28:29], v[22:23]
	v_mul_f64 v[28:29], v[26:27], v[22:23]
	v_fma_f64 v[20:21], -v[20:21], v[28:29], v[26:27]
	v_div_fmas_f64 v[20:21], v[20:21], v[22:23], v[28:29]
	v_div_fixup_f64 v[18:19], v[20:21], v[11:12], v[18:19]
	v_fma_f64 v[18:19], v[18:19], v[18:19], 1.0
	v_cmp_gt_f64_e32 vcc, s[14:15], v[18:19]
	v_cndmask_b32_e32 v0, 0, v0, vcc
	v_ldexp_f64 v[18:19], v[18:19], v0
	v_mov_b32_e32 v0, 0xffffff80
	v_cndmask_b32_e32 v0, 0, v0, vcc
	v_rsq_f64_e32 v[20:21], v[18:19]
	v_mul_f64 v[22:23], v[18:19], v[20:21]
	v_mul_f64 v[20:21], v[20:21], 0.5
	v_fma_f64 v[26:27], -v[20:21], v[22:23], 0.5
	v_fma_f64 v[22:23], v[22:23], v[26:27], v[22:23]
	v_fma_f64 v[20:21], v[20:21], v[26:27], v[20:21]
	v_fma_f64 v[26:27], -v[22:23], v[22:23], v[18:19]
	v_fma_f64 v[22:23], v[26:27], v[20:21], v[22:23]
	v_fma_f64 v[26:27], -v[22:23], v[22:23], v[18:19]
	v_fma_f64 v[20:21], v[26:27], v[20:21], v[22:23]
	v_mov_b32_e32 v22, 0x260
	v_cmp_class_f64_e32 vcc, v[18:19], v22
	v_ldexp_f64 v[20:21], v[20:21], v0
	v_cndmask_b32_e32 v19, v21, v19, vcc
	v_cndmask_b32_e32 v18, v20, v18, vcc
	v_mul_f64 v[20:21], v[11:12], v[18:19]
.LBB44_70:
	s_or_b64 exec, exec, s[8:9]
	v_cmp_eq_u32_e64 s[8:9], 0, v24
	s_and_b64 vcc, exec, s[6:7]
	s_mov_b64 s[6:7], -1
	s_cbranch_vccnz .LBB44_74
; %bb.71:
	v_cvt_f64_f32_e32 v[11:12], v25
	s_cmp_eq_u64 s[36:37], 8
	s_cselect_b64 vcc, -1, 0
	v_cndmask_b32_e32 v12, v12, v16, vcc
	v_cndmask_b32_e32 v11, v11, v15, vcc
	v_cmp_le_f64_e32 vcc, v[20:21], v[11:12]
	s_and_b64 s[14:15], s[8:9], vcc
	s_and_saveexec_b64 s[6:7], s[14:15]
	s_cbranch_execz .LBB44_73
; %bb.72:
	global_store_dwordx4 v[9:10], v[1:4], off
	s_waitcnt vmcnt(0)
	buffer_wbinvl1_vol
.LBB44_73:
	s_or_b64 exec, exec, s[6:7]
	s_mov_b64 s[6:7], 0
.LBB44_74:
	s_andn2_b64 vcc, exec, s[6:7]
	s_cbranch_vccnz .LBB44_85
; %bb.75:
	s_load_dwordx2 s[4:5], s[4:5], 0x48
	v_add_u32_e32 v0, s10, v17
	s_waitcnt lgkmcnt(0)
	v_cmp_ge_f64_e32 vcc, s[4:5], v[20:21]
	s_and_b64 s[6:7], s[8:9], vcc
	s_and_saveexec_b64 s[4:5], s[6:7]
	s_cbranch_execz .LBB44_80
; %bb.76:
	s_mov_b64 s[6:7], exec
	s_brev_b32 s10, -2
.LBB44_77:                              ; =>This Inner Loop Header: Depth=1
	s_ff1_i32_b64 s11, s[6:7]
	v_readlane_b32 s16, v0, s11
	s_lshl_b64 s[14:15], 1, s11
	s_min_i32 s10, s10, s16
	s_andn2_b64 s[6:7], s[6:7], s[14:15]
	s_cmp_lg_u64 s[6:7], 0
	s_cbranch_scc1 .LBB44_77
; %bb.78:
	v_mbcnt_lo_u32_b32 v1, exec_lo, 0
	v_mbcnt_hi_u32_b32 v1, exec_hi, v1
	v_cmp_eq_u32_e32 vcc, 0, v1
	s_and_saveexec_b64 s[6:7], vcc
	s_xor_b64 s[6:7], exec, s[6:7]
	s_cbranch_execz .LBB44_80
; %bb.79:
	v_mov_b32_e32 v1, 0
	v_mov_b32_e32 v2, s10
	global_atomic_smin v1, v2, s[26:27]
.LBB44_80:
	s_or_b64 exec, exec, s[4:5]
	v_cmp_eq_f64_e32 vcc, 0, v[5:6]
	v_cmp_eq_f64_e64 s[4:5], 0, v[7:8]
	s_and_b64 s[4:5], vcc, s[4:5]
	s_and_b64 s[4:5], s[8:9], s[4:5]
	s_and_b64 exec, exec, s[4:5]
	s_cbranch_execz .LBB44_85
; %bb.81:
	s_mov_b64 s[4:5], exec
	s_brev_b32 s6, -2
.LBB44_82:                              ; =>This Inner Loop Header: Depth=1
	s_ff1_i32_b64 s7, s[4:5]
	v_readlane_b32 s10, v0, s7
	s_lshl_b64 s[8:9], 1, s7
	s_min_i32 s6, s6, s10
	s_andn2_b64 s[4:5], s[4:5], s[8:9]
	s_cmp_lg_u64 s[4:5], 0
	s_cbranch_scc1 .LBB44_82
; %bb.83:
	v_mbcnt_lo_u32_b32 v0, exec_lo, 0
	v_mbcnt_hi_u32_b32 v0, exec_hi, v0
	v_cmp_eq_u32_e32 vcc, 0, v0
	s_and_saveexec_b64 s[4:5], vcc
	s_xor_b64 s[4:5], exec, s[4:5]
	s_cbranch_execz .LBB44_85
; %bb.84:
	v_mov_b32_e32 v0, 0
	v_mov_b32_e32 v1, s6
	global_atomic_smin v0, v1, s[24:25]
.LBB44_85:
	s_or_b64 exec, exec, s[12:13]
	v_cmp_eq_u32_e32 vcc, 0, v24
	s_waitcnt vmcnt(0)
	buffer_wbinvl1_vol
	s_and_b64 exec, exec, vcc
	s_cbranch_execz .LBB44_87
; %bb.86:
	v_mov_b32_e32 v1, s21
	v_add_co_u32_e32 v0, vcc, s20, v13
	v_addc_co_u32_e32 v1, vcc, v1, v14, vcc
	v_mov_b32_e32 v2, 1
	global_store_dword v[0:1], v2, off
.LBB44_87:
	s_endpgm
	.section	.rodata,"a",@progbits
	.p2align	6, 0x0
	.amdhsa_kernel _ZN9rocsparseL12csrilu0_hashILj256ELj32ELj16E21rocsparse_complex_numIdEEEviPKiS4_PT2_S4_PiS4_S7_S7_d21rocsparse_index_base_imNS_24const_host_device_scalarIfEENS9_IdEENS9_IS5_EEb
		.amdhsa_group_segment_fixed_size 32768
		.amdhsa_private_segment_fixed_size 16
		.amdhsa_kernarg_size 132
		.amdhsa_user_sgpr_count 8
		.amdhsa_user_sgpr_private_segment_buffer 1
		.amdhsa_user_sgpr_dispatch_ptr 0
		.amdhsa_user_sgpr_queue_ptr 0
		.amdhsa_user_sgpr_kernarg_segment_ptr 1
		.amdhsa_user_sgpr_dispatch_id 0
		.amdhsa_user_sgpr_flat_scratch_init 1
		.amdhsa_user_sgpr_private_segment_size 0
		.amdhsa_uses_dynamic_stack 0
		.amdhsa_system_sgpr_private_segment_wavefront_offset 1
		.amdhsa_system_sgpr_workgroup_id_x 1
		.amdhsa_system_sgpr_workgroup_id_y 0
		.amdhsa_system_sgpr_workgroup_id_z 0
		.amdhsa_system_sgpr_workgroup_info 0
		.amdhsa_system_vgpr_workitem_id 0
		.amdhsa_next_free_vgpr 85
		.amdhsa_next_free_sgpr 96
		.amdhsa_reserve_vcc 1
		.amdhsa_reserve_flat_scratch 1
		.amdhsa_float_round_mode_32 0
		.amdhsa_float_round_mode_16_64 0
		.amdhsa_float_denorm_mode_32 3
		.amdhsa_float_denorm_mode_16_64 3
		.amdhsa_dx10_clamp 1
		.amdhsa_ieee_mode 1
		.amdhsa_fp16_overflow 0
		.amdhsa_exception_fp_ieee_invalid_op 0
		.amdhsa_exception_fp_denorm_src 0
		.amdhsa_exception_fp_ieee_div_zero 0
		.amdhsa_exception_fp_ieee_overflow 0
		.amdhsa_exception_fp_ieee_underflow 0
		.amdhsa_exception_fp_ieee_inexact 0
		.amdhsa_exception_int_div_zero 0
	.end_amdhsa_kernel
	.section	.text._ZN9rocsparseL12csrilu0_hashILj256ELj32ELj16E21rocsparse_complex_numIdEEEviPKiS4_PT2_S4_PiS4_S7_S7_d21rocsparse_index_base_imNS_24const_host_device_scalarIfEENS9_IdEENS9_IS5_EEb,"axG",@progbits,_ZN9rocsparseL12csrilu0_hashILj256ELj32ELj16E21rocsparse_complex_numIdEEEviPKiS4_PT2_S4_PiS4_S7_S7_d21rocsparse_index_base_imNS_24const_host_device_scalarIfEENS9_IdEENS9_IS5_EEb,comdat
.Lfunc_end44:
	.size	_ZN9rocsparseL12csrilu0_hashILj256ELj32ELj16E21rocsparse_complex_numIdEEEviPKiS4_PT2_S4_PiS4_S7_S7_d21rocsparse_index_base_imNS_24const_host_device_scalarIfEENS9_IdEENS9_IS5_EEb, .Lfunc_end44-_ZN9rocsparseL12csrilu0_hashILj256ELj32ELj16E21rocsparse_complex_numIdEEEviPKiS4_PT2_S4_PiS4_S7_S7_d21rocsparse_index_base_imNS_24const_host_device_scalarIfEENS9_IdEENS9_IS5_EEb
                                        ; -- End function
	.set _ZN9rocsparseL12csrilu0_hashILj256ELj32ELj16E21rocsparse_complex_numIdEEEviPKiS4_PT2_S4_PiS4_S7_S7_d21rocsparse_index_base_imNS_24const_host_device_scalarIfEENS9_IdEENS9_IS5_EEb.num_vgpr, 44
	.set _ZN9rocsparseL12csrilu0_hashILj256ELj32ELj16E21rocsparse_complex_numIdEEEviPKiS4_PT2_S4_PiS4_S7_S7_d21rocsparse_index_base_imNS_24const_host_device_scalarIfEENS9_IdEENS9_IS5_EEb.num_agpr, 0
	.set _ZN9rocsparseL12csrilu0_hashILj256ELj32ELj16E21rocsparse_complex_numIdEEEviPKiS4_PT2_S4_PiS4_S7_S7_d21rocsparse_index_base_imNS_24const_host_device_scalarIfEENS9_IdEENS9_IS5_EEb.numbered_sgpr, 66
	.set _ZN9rocsparseL12csrilu0_hashILj256ELj32ELj16E21rocsparse_complex_numIdEEEviPKiS4_PT2_S4_PiS4_S7_S7_d21rocsparse_index_base_imNS_24const_host_device_scalarIfEENS9_IdEENS9_IS5_EEb.num_named_barrier, 0
	.set _ZN9rocsparseL12csrilu0_hashILj256ELj32ELj16E21rocsparse_complex_numIdEEEviPKiS4_PT2_S4_PiS4_S7_S7_d21rocsparse_index_base_imNS_24const_host_device_scalarIfEENS9_IdEENS9_IS5_EEb.private_seg_size, 16
	.set _ZN9rocsparseL12csrilu0_hashILj256ELj32ELj16E21rocsparse_complex_numIdEEEviPKiS4_PT2_S4_PiS4_S7_S7_d21rocsparse_index_base_imNS_24const_host_device_scalarIfEENS9_IdEENS9_IS5_EEb.uses_vcc, 1
	.set _ZN9rocsparseL12csrilu0_hashILj256ELj32ELj16E21rocsparse_complex_numIdEEEviPKiS4_PT2_S4_PiS4_S7_S7_d21rocsparse_index_base_imNS_24const_host_device_scalarIfEENS9_IdEENS9_IS5_EEb.uses_flat_scratch, 1
	.set _ZN9rocsparseL12csrilu0_hashILj256ELj32ELj16E21rocsparse_complex_numIdEEEviPKiS4_PT2_S4_PiS4_S7_S7_d21rocsparse_index_base_imNS_24const_host_device_scalarIfEENS9_IdEENS9_IS5_EEb.has_dyn_sized_stack, 0
	.set _ZN9rocsparseL12csrilu0_hashILj256ELj32ELj16E21rocsparse_complex_numIdEEEviPKiS4_PT2_S4_PiS4_S7_S7_d21rocsparse_index_base_imNS_24const_host_device_scalarIfEENS9_IdEENS9_IS5_EEb.has_recursion, 0
	.set _ZN9rocsparseL12csrilu0_hashILj256ELj32ELj16E21rocsparse_complex_numIdEEEviPKiS4_PT2_S4_PiS4_S7_S7_d21rocsparse_index_base_imNS_24const_host_device_scalarIfEENS9_IdEENS9_IS5_EEb.has_indirect_call, 0
	.section	.AMDGPU.csdata,"",@progbits
; Kernel info:
; codeLenInByte = 3384
; TotalNumSgprs: 72
; NumVgprs: 44
; ScratchSize: 16
; MemoryBound: 0
; FloatMode: 240
; IeeeMode: 1
; LDSByteSize: 32768 bytes/workgroup (compile time only)
; SGPRBlocks: 12
; VGPRBlocks: 21
; NumSGPRsForWavesPerEU: 102
; NumVGPRsForWavesPerEU: 85
; Occupancy: 2
; WaveLimiterHint : 1
; COMPUTE_PGM_RSRC2:SCRATCH_EN: 1
; COMPUTE_PGM_RSRC2:USER_SGPR: 8
; COMPUTE_PGM_RSRC2:TRAP_HANDLER: 0
; COMPUTE_PGM_RSRC2:TGID_X_EN: 1
; COMPUTE_PGM_RSRC2:TGID_Y_EN: 0
; COMPUTE_PGM_RSRC2:TGID_Z_EN: 0
; COMPUTE_PGM_RSRC2:TIDIG_COMP_CNT: 0
	.section	.text._ZN9rocsparseL17csrilu0_binsearchILj256ELj32ELb0E21rocsparse_complex_numIdEEEviPKiS4_PT2_S4_PiS4_S7_S7_d21rocsparse_index_base_imNS_24const_host_device_scalarIfEENS9_IdEENS9_IS5_EEb,"axG",@progbits,_ZN9rocsparseL17csrilu0_binsearchILj256ELj32ELb0E21rocsparse_complex_numIdEEEviPKiS4_PT2_S4_PiS4_S7_S7_d21rocsparse_index_base_imNS_24const_host_device_scalarIfEENS9_IdEENS9_IS5_EEb,comdat
	.globl	_ZN9rocsparseL17csrilu0_binsearchILj256ELj32ELb0E21rocsparse_complex_numIdEEEviPKiS4_PT2_S4_PiS4_S7_S7_d21rocsparse_index_base_imNS_24const_host_device_scalarIfEENS9_IdEENS9_IS5_EEb ; -- Begin function _ZN9rocsparseL17csrilu0_binsearchILj256ELj32ELb0E21rocsparse_complex_numIdEEEviPKiS4_PT2_S4_PiS4_S7_S7_d21rocsparse_index_base_imNS_24const_host_device_scalarIfEENS9_IdEENS9_IS5_EEb
	.p2align	8
	.type	_ZN9rocsparseL17csrilu0_binsearchILj256ELj32ELb0E21rocsparse_complex_numIdEEEviPKiS4_PT2_S4_PiS4_S7_S7_d21rocsparse_index_base_imNS_24const_host_device_scalarIfEENS9_IdEENS9_IS5_EEb,@function
_ZN9rocsparseL17csrilu0_binsearchILj256ELj32ELb0E21rocsparse_complex_numIdEEEviPKiS4_PT2_S4_PiS4_S7_S7_d21rocsparse_index_base_imNS_24const_host_device_scalarIfEENS9_IdEENS9_IS5_EEb: ; @_ZN9rocsparseL17csrilu0_binsearchILj256ELj32ELb0E21rocsparse_complex_numIdEEEviPKiS4_PT2_S4_PiS4_S7_S7_d21rocsparse_index_base_imNS_24const_host_device_scalarIfEENS9_IdEENS9_IS5_EEb
; %bb.0:
	s_add_u32 flat_scratch_lo, s6, s9
	s_load_dword s6, s[4:5], 0x80
	s_load_dwordx8 s[36:43], s[4:5], 0x58
	s_load_dwordx2 s[12:13], s[4:5], 0x78
	s_load_dwordx2 s[10:11], s[4:5], 0x50
	s_addc_u32 flat_scratch_hi, s7, 0
	s_add_u32 s0, s0, s9
	s_addc_u32 s1, s1, 0
	s_waitcnt lgkmcnt(0)
	s_bitcmp1_b32 s6, 0
	s_cselect_b64 s[14:15], -1, 0
	s_cmp_eq_u32 s11, 0
	s_cselect_b64 s[20:21], -1, 0
	s_cmp_lg_u32 s11, 0
	s_cselect_b64 s[16:17], -1, 0
	s_or_b64 s[22:23], s[20:21], s[14:15]
	s_xor_b64 s[6:7], s[22:23], -1
	v_mov_b32_e32 v1, s43
	s_and_b64 s[18:19], s[20:21], exec
	buffer_store_dword v1, off, s[0:3], 0 offset:4
	v_mov_b32_e32 v1, s42
	s_cselect_b32 s19, 0, s41
	s_cselect_b32 s18, 0, s40
	s_and_b64 vcc, exec, s[22:23]
	buffer_store_dword v1, off, s[0:3], 0
	s_cbranch_vccnz .LBB45_2
; %bb.1:
	s_load_dword s9, s[38:39], 0x0
	s_mov_b64 s[18:19], s[40:41]
	s_waitcnt lgkmcnt(0)
	v_mov_b32_e32 v24, s9
	v_mov_b32_e32 v15, s18
	s_andn2_b64 vcc, exec, s[6:7]
	v_mov_b32_e32 v16, s19
	s_cbranch_vccz .LBB45_3
	s_branch .LBB45_4
.LBB45_2:
	v_mov_b32_e32 v1, s38
	v_cndmask_b32_e64 v24, v1, 0, s[20:21]
	v_mov_b32_e32 v15, s18
	s_andn2_b64 vcc, exec, s[6:7]
	v_mov_b32_e32 v16, s19
	s_cbranch_vccnz .LBB45_4
.LBB45_3:
	v_mov_b32_e32 v1, s40
	v_mov_b32_e32 v2, s41
	flat_load_dwordx2 v[15:16], v[1:2]
.LBB45_4:
	v_cndmask_b32_e64 v3, 0, 1, s[16:17]
	v_mov_b32_e32 v1, 0
	v_cmp_ne_u32_e64 s[6:7], 1, v3
	v_mov_b32_e32 v3, 0
	v_mov_b32_e32 v2, 0
	s_andn2_b64 vcc, exec, s[16:17]
	v_mov_b32_e32 v4, 0
	s_cbranch_vccnz .LBB45_7
; %bb.5:
	s_xor_b64 s[18:19], s[14:15], -1
	s_mov_b64 s[16:17], src_private_base
	s_and_b64 s[14:15], s[14:15], exec
	s_cselect_b32 s9, s17, s43
	s_cselect_b32 s11, 0, s42
	v_mov_b32_e32 v1, s11
	v_mov_b32_e32 v2, s9
	flat_load_dwordx2 v[1:2], v[1:2]
	v_mov_b32_e32 v3, s12
	s_andn2_b64 vcc, exec, s[18:19]
	v_mov_b32_e32 v4, s13
	s_cbranch_vccnz .LBB45_7
; %bb.6:
	v_mov_b32_e32 v3, s42
	v_mov_b32_e32 v4, s43
	flat_load_dwordx2 v[3:4], v[3:4] offset:8
.LBB45_7:
	s_load_dword s9, s[4:5], 0x0
	s_lshl_b32 s8, s8, 3
	v_lshrrev_b32_e32 v5, 5, v0
	s_and_b32 s8, s8, 0x7fffff8
	v_or_b32_e32 v5, s8, v5
	s_waitcnt lgkmcnt(0)
	v_cmp_gt_i32_e32 vcc, s9, v5
	s_and_saveexec_b64 s[8:9], vcc
	s_cbranch_execz .LBB45_49
; %bb.8:
	s_load_dwordx16 s[12:27], s[4:5], 0x8
	v_lshlrev_b32_e32 v5, 2, v5
	v_and_b32_e32 v0, 31, v0
	s_waitcnt lgkmcnt(0)
	global_load_dword v17, v5, s[22:23]
	v_mov_b32_e32 v5, s19
	v_mov_b32_e32 v6, s13
	s_waitcnt vmcnt(0)
	v_ashrrev_i32_e32 v18, 31, v17
	v_lshlrev_b64 v[13:14], 2, v[17:18]
	v_add_co_u32_e32 v7, vcc, s18, v13
	v_addc_co_u32_e32 v8, vcc, v5, v14, vcc
	v_add_co_u32_e32 v5, vcc, s12, v13
	v_addc_co_u32_e32 v6, vcc, v6, v14, vcc
	global_load_dword v9, v[5:6], off
	global_load_dword v18, v[7:8], off
	s_waitcnt vmcnt(1)
	v_subrev_u32_e32 v19, s10, v9
	s_waitcnt vmcnt(0)
	v_cmp_lt_i32_e32 vcc, v19, v18
	s_and_saveexec_b64 s[22:23], vcc
	s_cbranch_execz .LBB45_25
; %bb.9:
	global_load_dword v5, v[5:6], off offset:4
	v_add_u32_e32 v25, 1, v0
	s_mov_b64 s[28:29], 0
	v_mov_b32_e32 v26, s15
	v_mov_b32_e32 v27, s17
	;; [unrolled: 1-line block ×5, first 2 shown]
	s_waitcnt vmcnt(0)
	v_xad_u32 v30, s10, -1, v5
	s_branch .LBB45_12
.LBB45_10:                              ;   in Loop: Header=BB45_12 Depth=1
	s_or_b64 exec, exec, s[30:31]
	v_cmp_ge_i32_e32 vcc, v19, v18
	s_orn2_b64 s[30:31], vcc, exec
.LBB45_11:                              ;   in Loop: Header=BB45_12 Depth=1
	s_or_b64 exec, exec, s[8:9]
	s_and_b64 s[8:9], exec, s[30:31]
	s_or_b64 s[28:29], s[8:9], s[28:29]
	s_andn2_b64 exec, exec, s[28:29]
	s_cbranch_execz .LBB45_25
.LBB45_12:                              ; =>This Loop Header: Depth=1
                                        ;     Child Loop BB45_14 Depth 2
                                        ;     Child Loop BB45_19 Depth 2
                                        ;       Child Loop BB45_21 Depth 3
	v_ashrrev_i32_e32 v20, 31, v19
	v_lshlrev_b64 v[5:6], 2, v[19:20]
	v_add_co_u32_e32 v5, vcc, s14, v5
	v_addc_co_u32_e32 v6, vcc, v26, v6, vcc
	global_load_dword v9, v[5:6], off
	v_lshlrev_b64 v[5:6], 4, v[19:20]
	v_add_co_u32_e32 v20, vcc, s16, v5
	v_addc_co_u32_e32 v21, vcc, v27, v6, vcc
	global_load_dwordx4 v[5:8], v[20:21], off
	s_waitcnt vmcnt(1)
	v_subrev_u32_e32 v9, s10, v9
	v_ashrrev_i32_e32 v10, 31, v9
	v_lshlrev_b64 v[9:10], 2, v[9:10]
	v_add_co_u32_e32 v22, vcc, s12, v9
	v_addc_co_u32_e32 v23, vcc, v28, v10, vcc
	v_add_co_u32_e32 v32, vcc, s18, v9
	v_addc_co_u32_e32 v33, vcc, v29, v10, vcc
	;; [unrolled: 2-line block ×3, first 2 shown]
	global_load_dword v12, v[22:23], off offset:4
	global_load_dword v11, v[32:33], off
	global_load_dword v34, v[9:10], off glc
	s_waitcnt vmcnt(0)
	v_cmp_eq_u32_e32 vcc, 0, v34
	s_and_saveexec_b64 s[8:9], vcc
	s_cbranch_execz .LBB45_15
; %bb.13:                               ;   in Loop: Header=BB45_12 Depth=1
	s_mov_b64 s[30:31], 0
.LBB45_14:                              ;   Parent Loop BB45_12 Depth=1
                                        ; =>  This Inner Loop Header: Depth=2
	global_load_dword v22, v[9:10], off glc
	s_waitcnt vmcnt(0)
	v_cmp_ne_u32_e32 vcc, 0, v22
	s_or_b64 s[30:31], vcc, s[30:31]
	s_andn2_b64 exec, exec, s[30:31]
	s_cbranch_execnz .LBB45_14
.LBB45_15:                              ;   in Loop: Header=BB45_12 Depth=1
	s_or_b64 exec, exec, s[8:9]
	v_subrev_u32_e32 v32, s10, v12
	v_add_u32_e32 v9, -1, v32
	v_cmp_eq_u32_e32 vcc, -1, v11
	v_cndmask_b32_e32 v22, v11, v9, vcc
	v_ashrrev_i32_e32 v23, 31, v22
	v_lshlrev_b64 v[9:10], 4, v[22:23]
	v_mov_b32_e32 v11, s17
	v_add_co_u32_e32 v9, vcc, s16, v9
	v_addc_co_u32_e32 v10, vcc, v11, v10, vcc
	buffer_wbinvl1_vol
	global_load_dwordx4 v[9:12], v[9:10], off
	s_mov_b64 s[30:31], -1
	s_waitcnt vmcnt(0)
	v_cmp_neq_f64_e32 vcc, 0, v[9:10]
	v_cmp_neq_f64_e64 s[8:9], 0, v[11:12]
	s_or_b64 s[8:9], vcc, s[8:9]
	s_and_saveexec_b64 s[34:35], s[8:9]
	s_xor_b64 s[8:9], exec, s[34:35]
	s_cbranch_execz .LBB45_11
; %bb.16:                               ;   in Loop: Header=BB45_12 Depth=1
	v_mul_f64 v[33:34], v[11:12], v[11:12]
	v_add_u32_e32 v19, 1, v19
	v_fma_f64 v[33:34], v[9:10], v[9:10], v[33:34]
	v_div_scale_f64 v[35:36], s[30:31], v[33:34], v[33:34], 1.0
	v_rcp_f64_e32 v[37:38], v[35:36]
	v_fma_f64 v[39:40], -v[35:36], v[37:38], 1.0
	v_fma_f64 v[37:38], v[37:38], v[39:40], v[37:38]
	v_div_scale_f64 v[39:40], vcc, 1.0, v[33:34], 1.0
	v_fma_f64 v[41:42], -v[35:36], v[37:38], 1.0
	v_fma_f64 v[37:38], v[37:38], v[41:42], v[37:38]
	v_mul_f64 v[41:42], v[39:40], v[37:38]
	v_fma_f64 v[35:36], -v[35:36], v[41:42], v[39:40]
	v_div_fmas_f64 v[35:36], v[35:36], v[37:38], v[41:42]
	v_mul_f64 v[37:38], v[7:8], v[11:12]
	v_mul_f64 v[11:12], v[11:12], -v[5:6]
	v_fma_f64 v[5:6], v[5:6], v[9:10], v[37:38]
	v_fma_f64 v[7:8], v[7:8], v[9:10], v[11:12]
	v_add_u32_e32 v9, v25, v22
	v_cmp_lt_i32_e32 vcc, v9, v32
	v_div_fixup_f64 v[33:34], v[35:36], v[33:34], 1.0
	v_mul_f64 v[5:6], v[5:6], v[33:34]
	v_mul_f64 v[7:8], v[7:8], v[33:34]
	global_store_dwordx4 v[20:21], v[5:8], off
	s_and_saveexec_b64 s[30:31], vcc
	s_cbranch_execz .LBB45_10
; %bb.17:                               ;   in Loop: Header=BB45_12 Depth=1
	s_mov_b64 s[34:35], 0
	v_mov_b32_e32 v11, v19
	s_branch .LBB45_19
.LBB45_18:                              ;   in Loop: Header=BB45_19 Depth=2
	s_or_b64 exec, exec, s[38:39]
	v_add_u32_e32 v9, 32, v9
	v_cmp_ge_i32_e32 vcc, v9, v32
	s_or_b64 s[34:35], vcc, s[34:35]
	s_andn2_b64 exec, exec, s[34:35]
	s_cbranch_execz .LBB45_10
.LBB45_19:                              ;   Parent Loop BB45_12 Depth=1
                                        ; =>  This Loop Header: Depth=2
                                        ;       Child Loop BB45_21 Depth 3
	v_ashrrev_i32_e32 v10, 31, v9
	v_lshlrev_b64 v[20:21], 2, v[9:10]
	v_add_u32_e32 v12, v11, v30
	v_mov_b32_e32 v35, s15
	v_add_co_u32_e32 v22, vcc, s14, v20
	v_ashrrev_i32_e32 v20, 1, v12
	v_addc_co_u32_e32 v23, vcc, v35, v21, vcc
	v_ashrrev_i32_e32 v21, 31, v20
	v_lshlrev_b64 v[33:34], 2, v[20:21]
	v_add_co_u32_e32 v33, vcc, s14, v33
	v_addc_co_u32_e32 v34, vcc, v35, v34, vcc
	global_load_dword v12, v[22:23], off
	global_load_dword v21, v[33:34], off
	v_cmp_lt_i32_e32 vcc, v11, v30
	s_and_saveexec_b64 s[38:39], vcc
	s_cbranch_execz .LBB45_23
; %bb.20:                               ;   in Loop: Header=BB45_19 Depth=2
	s_mov_b64 s[40:41], 0
	v_mov_b32_e32 v22, v30
.LBB45_21:                              ;   Parent Loop BB45_12 Depth=1
                                        ;     Parent Loop BB45_19 Depth=2
                                        ; =>    This Inner Loop Header: Depth=3
	v_add_u32_e32 v23, 1, v20
	s_waitcnt vmcnt(0)
	v_cmp_lt_i32_e32 vcc, v21, v12
	v_cndmask_b32_e32 v22, v20, v22, vcc
	v_cndmask_b32_e32 v11, v11, v23, vcc
	v_add_u32_e32 v20, v22, v11
	v_ashrrev_i32_e32 v20, 1, v20
	v_ashrrev_i32_e32 v21, 31, v20
	v_lshlrev_b64 v[33:34], 2, v[20:21]
	v_mov_b32_e32 v21, s15
	v_add_co_u32_e32 v33, vcc, s14, v33
	v_addc_co_u32_e32 v34, vcc, v21, v34, vcc
	global_load_dword v21, v[33:34], off
	v_cmp_ge_i32_e32 vcc, v11, v22
	s_or_b64 s[40:41], vcc, s[40:41]
	s_andn2_b64 exec, exec, s[40:41]
	s_cbranch_execnz .LBB45_21
; %bb.22:                               ;   in Loop: Header=BB45_19 Depth=2
	s_or_b64 exec, exec, s[40:41]
.LBB45_23:                              ;   in Loop: Header=BB45_19 Depth=2
	s_or_b64 exec, exec, s[38:39]
	s_waitcnt vmcnt(0)
	v_cmp_eq_u32_e32 vcc, v21, v12
	s_and_saveexec_b64 s[38:39], vcc
	s_cbranch_execz .LBB45_18
; %bb.24:                               ;   in Loop: Header=BB45_19 Depth=2
	v_lshlrev_b64 v[20:21], 4, v[9:10]
	v_mov_b32_e32 v10, s17
	v_add_co_u32_e32 v37, vcc, s16, v20
	v_ashrrev_i32_e32 v12, 31, v11
	v_addc_co_u32_e32 v38, vcc, v10, v21, vcc
	v_lshlrev_b64 v[20:21], 4, v[11:12]
	v_add_co_u32_e32 v39, vcc, s16, v20
	v_addc_co_u32_e32 v40, vcc, v10, v21, vcc
	global_load_dwordx4 v[20:23], v[37:38], off
	global_load_dwordx4 v[33:36], v[39:40], off
	s_waitcnt vmcnt(0)
	v_fma_f64 v[33:34], -v[5:6], v[20:21], v[33:34]
	v_fma_f64 v[35:36], -v[7:8], v[20:21], v[35:36]
	v_fma_f64 v[20:21], v[7:8], v[22:23], v[33:34]
	v_fma_f64 v[22:23], -v[5:6], v[22:23], v[35:36]
	global_store_dwordx4 v[39:40], v[20:23], off
	s_branch .LBB45_18
.LBB45_25:
	s_or_b64 exec, exec, s[22:23]
	v_cmp_lt_i32_e32 vcc, -1, v18
	s_and_saveexec_b64 s[12:13], vcc
	s_cbranch_execz .LBB45_47
; %bb.26:
	v_mov_b32_e32 v19, 0
	v_lshlrev_b64 v[5:6], 4, v[18:19]
	v_mov_b32_e32 v7, s17
	v_add_co_u32_e32 v9, vcc, s16, v5
	v_addc_co_u32_e32 v10, vcc, v7, v6, vcc
	global_load_dwordx4 v[5:8], v[9:10], off
                                        ; implicit-def: $vgpr20_vgpr21
	s_waitcnt vmcnt(0)
	v_cmp_gt_f64_e32 vcc, 0, v[5:6]
	v_xor_b32_e32 v12, 0x80000000, v6
	v_xor_b32_e32 v18, 0x80000000, v8
	v_mov_b32_e32 v11, v5
	v_cndmask_b32_e32 v12, v6, v12, vcc
	v_cmp_gt_f64_e32 vcc, 0, v[7:8]
	v_cndmask_b32_e32 v19, v8, v18, vcc
	v_mov_b32_e32 v18, v7
	v_cmp_ngt_f64_e32 vcc, v[11:12], v[18:19]
	s_and_saveexec_b64 s[8:9], vcc
	s_xor_b64 s[8:9], exec, s[8:9]
	s_cbranch_execz .LBB45_30
; %bb.27:
	v_cmp_neq_f64_e32 vcc, 0, v[7:8]
	v_mov_b32_e32 v20, 0
	v_mov_b32_e32 v21, 0
	s_and_saveexec_b64 s[14:15], vcc
	s_cbranch_execz .LBB45_29
; %bb.28:
	v_div_scale_f64 v[20:21], s[16:17], v[18:19], v[18:19], v[11:12]
	s_mov_b32 s16, 0
	s_brev_b32 s17, 8
	v_rcp_f64_e32 v[22:23], v[20:21]
	v_fma_f64 v[25:26], -v[20:21], v[22:23], 1.0
	v_fma_f64 v[22:23], v[22:23], v[25:26], v[22:23]
	v_div_scale_f64 v[25:26], vcc, v[11:12], v[18:19], v[11:12]
	v_fma_f64 v[27:28], -v[20:21], v[22:23], 1.0
	v_fma_f64 v[22:23], v[22:23], v[27:28], v[22:23]
	v_mul_f64 v[27:28], v[25:26], v[22:23]
	v_fma_f64 v[20:21], -v[20:21], v[27:28], v[25:26]
	v_div_fmas_f64 v[20:21], v[20:21], v[22:23], v[27:28]
	v_div_fixup_f64 v[11:12], v[20:21], v[18:19], v[11:12]
	v_mov_b32_e32 v20, 0x100
	v_fma_f64 v[11:12], v[11:12], v[11:12], 1.0
	v_cmp_gt_f64_e32 vcc, s[16:17], v[11:12]
	v_cndmask_b32_e32 v20, 0, v20, vcc
	v_ldexp_f64 v[11:12], v[11:12], v20
	v_rsq_f64_e32 v[20:21], v[11:12]
	v_mul_f64 v[22:23], v[11:12], v[20:21]
	v_mul_f64 v[20:21], v[20:21], 0.5
	v_fma_f64 v[25:26], -v[20:21], v[22:23], 0.5
	v_fma_f64 v[22:23], v[22:23], v[25:26], v[22:23]
	v_fma_f64 v[20:21], v[20:21], v[25:26], v[20:21]
	v_fma_f64 v[25:26], -v[22:23], v[22:23], v[11:12]
	v_fma_f64 v[22:23], v[25:26], v[20:21], v[22:23]
	v_fma_f64 v[25:26], -v[22:23], v[22:23], v[11:12]
	v_fma_f64 v[20:21], v[25:26], v[20:21], v[22:23]
	v_mov_b32_e32 v22, 0xffffff80
	v_mov_b32_e32 v23, 0x260
	v_cndmask_b32_e32 v22, 0, v22, vcc
	v_cmp_class_f64_e32 vcc, v[11:12], v23
	v_ldexp_f64 v[20:21], v[20:21], v22
	v_cndmask_b32_e32 v12, v21, v12, vcc
	v_cndmask_b32_e32 v11, v20, v11, vcc
	v_mul_f64 v[20:21], v[18:19], v[11:12]
.LBB45_29:
	s_or_b64 exec, exec, s[14:15]
                                        ; implicit-def: $vgpr11_vgpr12
                                        ; implicit-def: $vgpr18_vgpr19
.LBB45_30:
	s_andn2_saveexec_b64 s[8:9], s[8:9]
	s_cbranch_execz .LBB45_32
; %bb.31:
	v_div_scale_f64 v[20:21], s[14:15], v[11:12], v[11:12], v[18:19]
	s_mov_b32 s14, 0
	s_brev_b32 s15, 8
	v_rcp_f64_e32 v[22:23], v[20:21]
	v_fma_f64 v[25:26], -v[20:21], v[22:23], 1.0
	v_fma_f64 v[22:23], v[22:23], v[25:26], v[22:23]
	v_div_scale_f64 v[25:26], vcc, v[18:19], v[11:12], v[18:19]
	v_fma_f64 v[27:28], -v[20:21], v[22:23], 1.0
	v_fma_f64 v[22:23], v[22:23], v[27:28], v[22:23]
	v_mul_f64 v[27:28], v[25:26], v[22:23]
	v_fma_f64 v[20:21], -v[20:21], v[27:28], v[25:26]
	v_div_fmas_f64 v[20:21], v[20:21], v[22:23], v[27:28]
	v_div_fixup_f64 v[18:19], v[20:21], v[11:12], v[18:19]
	v_mov_b32_e32 v20, 0x100
	v_fma_f64 v[18:19], v[18:19], v[18:19], 1.0
	v_cmp_gt_f64_e32 vcc, s[14:15], v[18:19]
	v_cndmask_b32_e32 v20, 0, v20, vcc
	v_ldexp_f64 v[18:19], v[18:19], v20
	v_rsq_f64_e32 v[20:21], v[18:19]
	v_mul_f64 v[22:23], v[18:19], v[20:21]
	v_mul_f64 v[20:21], v[20:21], 0.5
	v_fma_f64 v[25:26], -v[20:21], v[22:23], 0.5
	v_fma_f64 v[22:23], v[22:23], v[25:26], v[22:23]
	v_fma_f64 v[20:21], v[20:21], v[25:26], v[20:21]
	v_fma_f64 v[25:26], -v[22:23], v[22:23], v[18:19]
	v_fma_f64 v[22:23], v[25:26], v[20:21], v[22:23]
	v_fma_f64 v[25:26], -v[22:23], v[22:23], v[18:19]
	v_fma_f64 v[20:21], v[25:26], v[20:21], v[22:23]
	v_mov_b32_e32 v22, 0xffffff80
	v_mov_b32_e32 v23, 0x260
	v_cndmask_b32_e32 v22, 0, v22, vcc
	v_cmp_class_f64_e32 vcc, v[18:19], v23
	v_ldexp_f64 v[20:21], v[20:21], v22
	v_cndmask_b32_e32 v19, v21, v19, vcc
	v_cndmask_b32_e32 v18, v20, v18, vcc
	v_mul_f64 v[20:21], v[11:12], v[18:19]
.LBB45_32:
	s_or_b64 exec, exec, s[8:9]
	v_cmp_eq_u32_e64 s[8:9], 0, v0
	s_and_b64 vcc, exec, s[6:7]
	s_mov_b64 s[6:7], -1
	s_cbranch_vccnz .LBB45_36
; %bb.33:
	v_cvt_f64_f32_e32 v[11:12], v24
	s_cmp_eq_u64 s[36:37], 8
	s_cselect_b64 vcc, -1, 0
	v_cndmask_b32_e32 v12, v12, v16, vcc
	v_cndmask_b32_e32 v11, v11, v15, vcc
	v_cmp_le_f64_e32 vcc, v[20:21], v[11:12]
	s_and_b64 s[14:15], s[8:9], vcc
	s_and_saveexec_b64 s[6:7], s[14:15]
	s_cbranch_execz .LBB45_35
; %bb.34:
	global_store_dwordx4 v[9:10], v[1:4], off
.LBB45_35:
	s_or_b64 exec, exec, s[6:7]
	s_mov_b64 s[6:7], 0
.LBB45_36:
	s_andn2_b64 vcc, exec, s[6:7]
	s_cbranch_vccnz .LBB45_47
; %bb.37:
	s_load_dwordx2 s[4:5], s[4:5], 0x48
	v_add_u32_e32 v1, s10, v17
	s_waitcnt lgkmcnt(0)
	v_cmp_ge_f64_e32 vcc, s[4:5], v[20:21]
	s_and_b64 s[6:7], s[8:9], vcc
	s_and_saveexec_b64 s[4:5], s[6:7]
	s_cbranch_execz .LBB45_42
; %bb.38:
	s_mov_b64 s[6:7], exec
	s_brev_b32 s10, -2
.LBB45_39:                              ; =>This Inner Loop Header: Depth=1
	s_ff1_i32_b64 s11, s[6:7]
	v_readlane_b32 s16, v1, s11
	s_lshl_b64 s[14:15], 1, s11
	s_min_i32 s10, s10, s16
	s_andn2_b64 s[6:7], s[6:7], s[14:15]
	s_cmp_lg_u64 s[6:7], 0
	s_cbranch_scc1 .LBB45_39
; %bb.40:
	v_mbcnt_lo_u32_b32 v2, exec_lo, 0
	v_mbcnt_hi_u32_b32 v2, exec_hi, v2
	v_cmp_eq_u32_e32 vcc, 0, v2
	s_and_saveexec_b64 s[6:7], vcc
	s_xor_b64 s[6:7], exec, s[6:7]
	s_cbranch_execz .LBB45_42
; %bb.41:
	v_mov_b32_e32 v2, 0
	v_mov_b32_e32 v3, s10
	global_atomic_smin v2, v3, s[26:27]
.LBB45_42:
	s_or_b64 exec, exec, s[4:5]
	v_cmp_eq_f64_e32 vcc, 0, v[5:6]
	v_cmp_eq_f64_e64 s[4:5], 0, v[7:8]
	s_and_b64 s[4:5], vcc, s[4:5]
	s_and_b64 s[4:5], s[8:9], s[4:5]
	s_and_b64 exec, exec, s[4:5]
	s_cbranch_execz .LBB45_47
; %bb.43:
	s_mov_b64 s[4:5], exec
	s_brev_b32 s6, -2
.LBB45_44:                              ; =>This Inner Loop Header: Depth=1
	s_ff1_i32_b64 s7, s[4:5]
	v_readlane_b32 s10, v1, s7
	s_lshl_b64 s[8:9], 1, s7
	s_min_i32 s6, s6, s10
	s_andn2_b64 s[4:5], s[4:5], s[8:9]
	s_cmp_lg_u64 s[4:5], 0
	s_cbranch_scc1 .LBB45_44
; %bb.45:
	v_mbcnt_lo_u32_b32 v1, exec_lo, 0
	v_mbcnt_hi_u32_b32 v1, exec_hi, v1
	v_cmp_eq_u32_e32 vcc, 0, v1
	s_and_saveexec_b64 s[4:5], vcc
	s_xor_b64 s[4:5], exec, s[4:5]
	s_cbranch_execz .LBB45_47
; %bb.46:
	v_mov_b32_e32 v1, 0
	v_mov_b32_e32 v2, s6
	global_atomic_smin v1, v2, s[24:25]
.LBB45_47:
	s_or_b64 exec, exec, s[12:13]
	v_cmp_eq_u32_e32 vcc, 0, v0
	s_waitcnt vmcnt(0)
	buffer_wbinvl1_vol
	s_and_b64 exec, exec, vcc
	s_cbranch_execz .LBB45_49
; %bb.48:
	v_mov_b32_e32 v1, s21
	v_add_co_u32_e32 v0, vcc, s20, v13
	v_addc_co_u32_e32 v1, vcc, v1, v14, vcc
	v_mov_b32_e32 v2, 1
	global_store_dword v[0:1], v2, off
.LBB45_49:
	s_endpgm
	.section	.rodata,"a",@progbits
	.p2align	6, 0x0
	.amdhsa_kernel _ZN9rocsparseL17csrilu0_binsearchILj256ELj32ELb0E21rocsparse_complex_numIdEEEviPKiS4_PT2_S4_PiS4_S7_S7_d21rocsparse_index_base_imNS_24const_host_device_scalarIfEENS9_IdEENS9_IS5_EEb
		.amdhsa_group_segment_fixed_size 0
		.amdhsa_private_segment_fixed_size 16
		.amdhsa_kernarg_size 132
		.amdhsa_user_sgpr_count 8
		.amdhsa_user_sgpr_private_segment_buffer 1
		.amdhsa_user_sgpr_dispatch_ptr 0
		.amdhsa_user_sgpr_queue_ptr 0
		.amdhsa_user_sgpr_kernarg_segment_ptr 1
		.amdhsa_user_sgpr_dispatch_id 0
		.amdhsa_user_sgpr_flat_scratch_init 1
		.amdhsa_user_sgpr_private_segment_size 0
		.amdhsa_uses_dynamic_stack 0
		.amdhsa_system_sgpr_private_segment_wavefront_offset 1
		.amdhsa_system_sgpr_workgroup_id_x 1
		.amdhsa_system_sgpr_workgroup_id_y 0
		.amdhsa_system_sgpr_workgroup_id_z 0
		.amdhsa_system_sgpr_workgroup_info 0
		.amdhsa_system_vgpr_workitem_id 0
		.amdhsa_next_free_vgpr 43
		.amdhsa_next_free_sgpr 44
		.amdhsa_reserve_vcc 1
		.amdhsa_reserve_flat_scratch 1
		.amdhsa_float_round_mode_32 0
		.amdhsa_float_round_mode_16_64 0
		.amdhsa_float_denorm_mode_32 3
		.amdhsa_float_denorm_mode_16_64 3
		.amdhsa_dx10_clamp 1
		.amdhsa_ieee_mode 1
		.amdhsa_fp16_overflow 0
		.amdhsa_exception_fp_ieee_invalid_op 0
		.amdhsa_exception_fp_denorm_src 0
		.amdhsa_exception_fp_ieee_div_zero 0
		.amdhsa_exception_fp_ieee_overflow 0
		.amdhsa_exception_fp_ieee_underflow 0
		.amdhsa_exception_fp_ieee_inexact 0
		.amdhsa_exception_int_div_zero 0
	.end_amdhsa_kernel
	.section	.text._ZN9rocsparseL17csrilu0_binsearchILj256ELj32ELb0E21rocsparse_complex_numIdEEEviPKiS4_PT2_S4_PiS4_S7_S7_d21rocsparse_index_base_imNS_24const_host_device_scalarIfEENS9_IdEENS9_IS5_EEb,"axG",@progbits,_ZN9rocsparseL17csrilu0_binsearchILj256ELj32ELb0E21rocsparse_complex_numIdEEEviPKiS4_PT2_S4_PiS4_S7_S7_d21rocsparse_index_base_imNS_24const_host_device_scalarIfEENS9_IdEENS9_IS5_EEb,comdat
.Lfunc_end45:
	.size	_ZN9rocsparseL17csrilu0_binsearchILj256ELj32ELb0E21rocsparse_complex_numIdEEEviPKiS4_PT2_S4_PiS4_S7_S7_d21rocsparse_index_base_imNS_24const_host_device_scalarIfEENS9_IdEENS9_IS5_EEb, .Lfunc_end45-_ZN9rocsparseL17csrilu0_binsearchILj256ELj32ELb0E21rocsparse_complex_numIdEEEviPKiS4_PT2_S4_PiS4_S7_S7_d21rocsparse_index_base_imNS_24const_host_device_scalarIfEENS9_IdEENS9_IS5_EEb
                                        ; -- End function
	.set _ZN9rocsparseL17csrilu0_binsearchILj256ELj32ELb0E21rocsparse_complex_numIdEEEviPKiS4_PT2_S4_PiS4_S7_S7_d21rocsparse_index_base_imNS_24const_host_device_scalarIfEENS9_IdEENS9_IS5_EEb.num_vgpr, 43
	.set _ZN9rocsparseL17csrilu0_binsearchILj256ELj32ELb0E21rocsparse_complex_numIdEEEviPKiS4_PT2_S4_PiS4_S7_S7_d21rocsparse_index_base_imNS_24const_host_device_scalarIfEENS9_IdEENS9_IS5_EEb.num_agpr, 0
	.set _ZN9rocsparseL17csrilu0_binsearchILj256ELj32ELb0E21rocsparse_complex_numIdEEEviPKiS4_PT2_S4_PiS4_S7_S7_d21rocsparse_index_base_imNS_24const_host_device_scalarIfEENS9_IdEENS9_IS5_EEb.numbered_sgpr, 44
	.set _ZN9rocsparseL17csrilu0_binsearchILj256ELj32ELb0E21rocsparse_complex_numIdEEEviPKiS4_PT2_S4_PiS4_S7_S7_d21rocsparse_index_base_imNS_24const_host_device_scalarIfEENS9_IdEENS9_IS5_EEb.num_named_barrier, 0
	.set _ZN9rocsparseL17csrilu0_binsearchILj256ELj32ELb0E21rocsparse_complex_numIdEEEviPKiS4_PT2_S4_PiS4_S7_S7_d21rocsparse_index_base_imNS_24const_host_device_scalarIfEENS9_IdEENS9_IS5_EEb.private_seg_size, 16
	.set _ZN9rocsparseL17csrilu0_binsearchILj256ELj32ELb0E21rocsparse_complex_numIdEEEviPKiS4_PT2_S4_PiS4_S7_S7_d21rocsparse_index_base_imNS_24const_host_device_scalarIfEENS9_IdEENS9_IS5_EEb.uses_vcc, 1
	.set _ZN9rocsparseL17csrilu0_binsearchILj256ELj32ELb0E21rocsparse_complex_numIdEEEviPKiS4_PT2_S4_PiS4_S7_S7_d21rocsparse_index_base_imNS_24const_host_device_scalarIfEENS9_IdEENS9_IS5_EEb.uses_flat_scratch, 1
	.set _ZN9rocsparseL17csrilu0_binsearchILj256ELj32ELb0E21rocsparse_complex_numIdEEEviPKiS4_PT2_S4_PiS4_S7_S7_d21rocsparse_index_base_imNS_24const_host_device_scalarIfEENS9_IdEENS9_IS5_EEb.has_dyn_sized_stack, 0
	.set _ZN9rocsparseL17csrilu0_binsearchILj256ELj32ELb0E21rocsparse_complex_numIdEEEviPKiS4_PT2_S4_PiS4_S7_S7_d21rocsparse_index_base_imNS_24const_host_device_scalarIfEENS9_IdEENS9_IS5_EEb.has_recursion, 0
	.set _ZN9rocsparseL17csrilu0_binsearchILj256ELj32ELb0E21rocsparse_complex_numIdEEEviPKiS4_PT2_S4_PiS4_S7_S7_d21rocsparse_index_base_imNS_24const_host_device_scalarIfEENS9_IdEENS9_IS5_EEb.has_indirect_call, 0
	.section	.AMDGPU.csdata,"",@progbits
; Kernel info:
; codeLenInByte = 2340
; TotalNumSgprs: 50
; NumVgprs: 43
; ScratchSize: 16
; MemoryBound: 0
; FloatMode: 240
; IeeeMode: 1
; LDSByteSize: 0 bytes/workgroup (compile time only)
; SGPRBlocks: 6
; VGPRBlocks: 10
; NumSGPRsForWavesPerEU: 50
; NumVGPRsForWavesPerEU: 43
; Occupancy: 5
; WaveLimiterHint : 1
; COMPUTE_PGM_RSRC2:SCRATCH_EN: 1
; COMPUTE_PGM_RSRC2:USER_SGPR: 8
; COMPUTE_PGM_RSRC2:TRAP_HANDLER: 0
; COMPUTE_PGM_RSRC2:TGID_X_EN: 1
; COMPUTE_PGM_RSRC2:TGID_Y_EN: 0
; COMPUTE_PGM_RSRC2:TGID_Z_EN: 0
; COMPUTE_PGM_RSRC2:TIDIG_COMP_CNT: 0
	.section	.text._ZN9rocsparseL12csrilu0_hashILj256ELj64ELj1E21rocsparse_complex_numIdEEEviPKiS4_PT2_S4_PiS4_S7_S7_d21rocsparse_index_base_imNS_24const_host_device_scalarIfEENS9_IdEENS9_IS5_EEb,"axG",@progbits,_ZN9rocsparseL12csrilu0_hashILj256ELj64ELj1E21rocsparse_complex_numIdEEEviPKiS4_PT2_S4_PiS4_S7_S7_d21rocsparse_index_base_imNS_24const_host_device_scalarIfEENS9_IdEENS9_IS5_EEb,comdat
	.globl	_ZN9rocsparseL12csrilu0_hashILj256ELj64ELj1E21rocsparse_complex_numIdEEEviPKiS4_PT2_S4_PiS4_S7_S7_d21rocsparse_index_base_imNS_24const_host_device_scalarIfEENS9_IdEENS9_IS5_EEb ; -- Begin function _ZN9rocsparseL12csrilu0_hashILj256ELj64ELj1E21rocsparse_complex_numIdEEEviPKiS4_PT2_S4_PiS4_S7_S7_d21rocsparse_index_base_imNS_24const_host_device_scalarIfEENS9_IdEENS9_IS5_EEb
	.p2align	8
	.type	_ZN9rocsparseL12csrilu0_hashILj256ELj64ELj1E21rocsparse_complex_numIdEEEviPKiS4_PT2_S4_PiS4_S7_S7_d21rocsparse_index_base_imNS_24const_host_device_scalarIfEENS9_IdEENS9_IS5_EEb,@function
_ZN9rocsparseL12csrilu0_hashILj256ELj64ELj1E21rocsparse_complex_numIdEEEviPKiS4_PT2_S4_PiS4_S7_S7_d21rocsparse_index_base_imNS_24const_host_device_scalarIfEENS9_IdEENS9_IS5_EEb: ; @_ZN9rocsparseL12csrilu0_hashILj256ELj64ELj1E21rocsparse_complex_numIdEEEviPKiS4_PT2_S4_PiS4_S7_S7_d21rocsparse_index_base_imNS_24const_host_device_scalarIfEENS9_IdEENS9_IS5_EEb
; %bb.0:
	s_add_u32 flat_scratch_lo, s6, s9
	s_load_dword s6, s[4:5], 0x80
	s_load_dwordx8 s[36:43], s[4:5], 0x58
	s_load_dwordx2 s[12:13], s[4:5], 0x78
	s_load_dwordx2 s[10:11], s[4:5], 0x50
	s_addc_u32 flat_scratch_hi, s7, 0
	s_add_u32 s0, s0, s9
	s_addc_u32 s1, s1, 0
	s_waitcnt lgkmcnt(0)
	s_bitcmp1_b32 s6, 0
	s_cselect_b64 s[14:15], -1, 0
	s_cmp_eq_u32 s11, 0
	s_cselect_b64 s[20:21], -1, 0
	s_cmp_lg_u32 s11, 0
	s_cselect_b64 s[16:17], -1, 0
	s_or_b64 s[22:23], s[20:21], s[14:15]
	s_xor_b64 s[6:7], s[22:23], -1
	v_mov_b32_e32 v1, s43
	s_and_b64 s[18:19], s[20:21], exec
	buffer_store_dword v1, off, s[0:3], 0 offset:4
	v_mov_b32_e32 v1, s42
	s_cselect_b32 s19, 0, s41
	s_cselect_b32 s18, 0, s40
	s_and_b64 vcc, exec, s[22:23]
	buffer_store_dword v1, off, s[0:3], 0
	s_cbranch_vccnz .LBB46_2
; %bb.1:
	s_load_dword s9, s[38:39], 0x0
	s_mov_b64 s[18:19], s[40:41]
	s_waitcnt lgkmcnt(0)
	v_mov_b32_e32 v25, s9
	v_mov_b32_e32 v15, s18
	s_andn2_b64 vcc, exec, s[6:7]
	v_mov_b32_e32 v16, s19
	s_cbranch_vccz .LBB46_3
	s_branch .LBB46_4
.LBB46_2:
	v_mov_b32_e32 v1, s38
	v_cndmask_b32_e64 v25, v1, 0, s[20:21]
	v_mov_b32_e32 v15, s18
	s_andn2_b64 vcc, exec, s[6:7]
	v_mov_b32_e32 v16, s19
	s_cbranch_vccnz .LBB46_4
.LBB46_3:
	v_mov_b32_e32 v1, s40
	v_mov_b32_e32 v2, s41
	flat_load_dwordx2 v[15:16], v[1:2]
.LBB46_4:
	v_cndmask_b32_e64 v1, 0, 1, s[16:17]
	v_mov_b32_e32 v3, 0
	v_cmp_ne_u32_e64 s[6:7], 1, v1
	v_mov_b32_e32 v1, 0
	v_mov_b32_e32 v4, 0
	s_andn2_b64 vcc, exec, s[16:17]
	v_mov_b32_e32 v2, 0
	s_cbranch_vccnz .LBB46_7
; %bb.5:
	s_xor_b64 s[18:19], s[14:15], -1
	s_mov_b64 s[16:17], src_private_base
	s_and_b64 s[14:15], s[14:15], exec
	s_cselect_b32 s9, s17, s43
	s_cselect_b32 s11, 0, s42
	v_mov_b32_e32 v1, s11
	v_mov_b32_e32 v2, s9
	flat_load_dwordx2 v[1:2], v[1:2]
	v_mov_b32_e32 v3, s12
	s_andn2_b64 vcc, exec, s[18:19]
	v_mov_b32_e32 v4, s13
	s_cbranch_vccnz .LBB46_7
; %bb.6:
	v_mov_b32_e32 v3, s42
	v_mov_b32_e32 v4, s43
	flat_load_dwordx2 v[3:4], v[3:4] offset:8
.LBB46_7:
	s_load_dword s9, s[4:5], 0x0
	s_lshl_b32 s8, s8, 2
	v_and_b32_e32 v24, 63, v0
	v_and_b32_e32 v5, 0xc0, v0
	v_mov_b32_e32 v6, 0x400
	v_lshrrev_b32_e32 v0, 6, v0
	s_and_b32 s8, s8, 0x3fffffc
	v_lshl_or_b32 v26, v5, 2, v6
	v_or_b32_e32 v0, s8, v0
	v_lshl_or_b32 v6, v24, 2, v26
	v_mov_b32_e32 v7, -1
	s_waitcnt lgkmcnt(0)
	v_cmp_gt_i32_e32 vcc, s9, v0
	ds_write_b32 v6, v7
	s_waitcnt lgkmcnt(0)
	s_and_saveexec_b64 s[8:9], vcc
	s_cbranch_execz .LBB46_85
; %bb.8:
	s_load_dwordx16 s[12:27], s[4:5], 0x8
	v_lshlrev_b32_e32 v0, 2, v0
	s_waitcnt lgkmcnt(0)
	global_load_dword v17, v0, s[22:23]
	v_mov_b32_e32 v7, s13
	v_mov_b32_e32 v0, s19
	s_waitcnt vmcnt(0)
	v_ashrrev_i32_e32 v18, 31, v17
	v_lshlrev_b64 v[13:14], 2, v[17:18]
	v_add_co_u32_e32 v6, vcc, s12, v13
	v_addc_co_u32_e32 v7, vcc, v7, v14, vcc
	global_load_dwordx2 v[6:7], v[6:7], off
	v_add_co_u32_e32 v8, vcc, s18, v13
	v_addc_co_u32_e32 v9, vcc, v0, v14, vcc
	global_load_dword v18, v[8:9], off
	v_lshlrev_b32_e32 v0, 2, v5
	s_waitcnt vmcnt(1)
	v_subrev_u32_e32 v19, s10, v6
	v_subrev_u32_e32 v7, s10, v7
	v_add_u32_e32 v5, v19, v24
	v_cmp_lt_i32_e32 vcc, v5, v7
	s_and_saveexec_b64 s[8:9], vcc
	s_cbranch_execz .LBB46_31
; %bb.9:
	s_mov_b64 s[22:23], 0
	v_mov_b32_e32 v8, s15
	v_mov_b32_e32 v9, -1
	s_branch .LBB46_11
.LBB46_10:                              ;   in Loop: Header=BB46_11 Depth=1
	s_or_b64 exec, exec, s[28:29]
	v_add_u32_e32 v5, 64, v5
	v_cmp_ge_i32_e32 vcc, v5, v7
	s_or_b64 s[22:23], vcc, s[22:23]
	s_andn2_b64 exec, exec, s[22:23]
	s_cbranch_execz .LBB46_31
.LBB46_11:                              ; =>This Loop Header: Depth=1
                                        ;     Child Loop BB46_20 Depth 2
	v_ashrrev_i32_e32 v6, 31, v5
	v_lshlrev_b64 v[10:11], 2, v[5:6]
	s_mov_b64 s[30:31], 0
	v_add_co_u32_e32 v10, vcc, s14, v10
	v_addc_co_u32_e32 v11, vcc, v8, v11, vcc
	global_load_dword v6, v[10:11], off
	v_mov_b32_e32 v10, 64
                                        ; implicit-def: $sgpr28_sgpr29
                                        ; implicit-def: $sgpr34_sgpr35
                                        ; implicit-def: $sgpr38_sgpr39
	s_waitcnt vmcnt(0)
	v_mul_lo_u32 v12, v6, 39
	s_branch .LBB46_20
.LBB46_12:                              ;   in Loop: Header=BB46_20 Depth=2
	s_or_b64 exec, exec, s[58:59]
	s_orn2_b64 s[54:55], s[54:55], exec
	s_orn2_b64 s[56:57], s[56:57], exec
.LBB46_13:                              ;   in Loop: Header=BB46_20 Depth=2
	s_or_b64 exec, exec, s[52:53]
	s_and_b64 s[54:55], s[54:55], exec
	s_orn2_b64 s[52:53], s[56:57], exec
.LBB46_14:                              ;   in Loop: Header=BB46_20 Depth=2
	s_or_b64 exec, exec, s[50:51]
	s_orn2_b64 s[54:55], s[54:55], exec
	s_orn2_b64 s[50:51], s[52:53], exec
.LBB46_15:                              ;   in Loop: Header=BB46_20 Depth=2
	s_or_b64 exec, exec, s[48:49]
	s_and_b64 s[52:53], s[54:55], exec
	s_orn2_b64 s[48:49], s[50:51], exec
.LBB46_16:                              ;   in Loop: Header=BB46_20 Depth=2
	s_or_b64 exec, exec, s[46:47]
	s_orn2_b64 s[46:47], s[52:53], exec
	s_orn2_b64 s[48:49], s[48:49], exec
.LBB46_17:                              ;   in Loop: Header=BB46_20 Depth=2
	s_or_b64 exec, exec, s[44:45]
	s_and_b64 s[46:47], s[46:47], exec
	s_orn2_b64 s[44:45], s[48:49], exec
.LBB46_18:                              ;   in Loop: Header=BB46_20 Depth=2
	s_or_b64 exec, exec, s[42:43]
	s_andn2_b64 s[38:39], s[38:39], exec
	s_and_b64 s[42:43], s[46:47], exec
	s_or_b64 s[38:39], s[38:39], s[42:43]
	s_andn2_b64 s[34:35], s[34:35], exec
	s_and_b64 s[42:43], s[44:45], exec
	s_or_b64 s[34:35], s[34:35], s[42:43]
.LBB46_19:                              ;   in Loop: Header=BB46_20 Depth=2
	s_or_b64 exec, exec, s[40:41]
	s_and_b64 s[40:41], exec, s[34:35]
	s_or_b64 s[30:31], s[40:41], s[30:31]
	s_andn2_b64 s[28:29], s[28:29], exec
	s_and_b64 s[40:41], s[38:39], exec
	s_or_b64 s[28:29], s[28:29], s[40:41]
	s_andn2_b64 exec, exec, s[30:31]
	s_cbranch_execz .LBB46_29
.LBB46_20:                              ;   Parent Loop BB46_11 Depth=1
                                        ; =>  This Inner Loop Header: Depth=2
	v_and_b32_e32 v11, 63, v12
	v_lshl_add_u32 v20, v11, 2, v26
	ds_read_b32 v21, v20
	s_or_b64 s[38:39], s[38:39], exec
	s_or_b64 s[34:35], s[34:35], exec
	s_waitcnt lgkmcnt(0)
	v_cmp_ne_u32_e32 vcc, v21, v6
	s_and_saveexec_b64 s[40:41], vcc
	s_cbranch_execz .LBB46_19
; %bb.21:                               ;   in Loop: Header=BB46_20 Depth=2
	ds_cmpst_rtn_b32 v20, v20, v9, v6
	s_mov_b64 s[44:45], -1
	s_mov_b64 s[46:47], 0
	s_waitcnt lgkmcnt(0)
	v_cmp_ne_u32_e32 vcc, -1, v20
	s_and_saveexec_b64 s[42:43], vcc
	s_cbranch_execz .LBB46_18
; %bb.22:                               ;   in Loop: Header=BB46_20 Depth=2
	v_add_u32_e32 v11, 1, v12
	v_and_b32_e32 v11, 63, v11
	v_lshl_add_u32 v20, v11, 2, v26
	ds_read_b32 v21, v20
	s_mov_b64 s[48:49], -1
	s_mov_b64 s[46:47], -1
	s_waitcnt lgkmcnt(0)
	v_cmp_ne_u32_e32 vcc, v21, v6
	s_and_saveexec_b64 s[44:45], vcc
	s_cbranch_execz .LBB46_17
; %bb.23:                               ;   in Loop: Header=BB46_20 Depth=2
	ds_cmpst_rtn_b32 v20, v20, v9, v6
	s_mov_b64 s[52:53], 0
	s_waitcnt lgkmcnt(0)
	v_cmp_ne_u32_e32 vcc, -1, v20
	s_and_saveexec_b64 s[46:47], vcc
	s_cbranch_execz .LBB46_16
; %bb.24:                               ;   in Loop: Header=BB46_20 Depth=2
	v_add_u32_e32 v11, 2, v12
	v_and_b32_e32 v11, 63, v11
	v_lshl_add_u32 v20, v11, 2, v26
	ds_read_b32 v21, v20
	s_mov_b64 s[50:51], -1
	s_mov_b64 s[54:55], -1
	s_waitcnt lgkmcnt(0)
	v_cmp_ne_u32_e32 vcc, v21, v6
	s_and_saveexec_b64 s[48:49], vcc
	s_cbranch_execz .LBB46_15
; %bb.25:                               ;   in Loop: Header=BB46_20 Depth=2
	ds_cmpst_rtn_b32 v20, v20, v9, v6
	s_mov_b64 s[52:53], -1
	s_mov_b64 s[54:55], 0
	s_waitcnt lgkmcnt(0)
	v_cmp_ne_u32_e32 vcc, -1, v20
	s_and_saveexec_b64 s[50:51], vcc
	s_cbranch_execz .LBB46_14
; %bb.26:                               ;   in Loop: Header=BB46_20 Depth=2
	v_add_u32_e32 v11, 3, v12
	v_and_b32_e32 v11, 63, v11
	v_lshl_add_u32 v20, v11, 2, v26
	ds_read_b32 v12, v20
	s_mov_b64 s[56:57], -1
	s_mov_b64 s[54:55], -1
	s_waitcnt lgkmcnt(0)
	v_cmp_ne_u32_e32 vcc, v12, v6
                                        ; implicit-def: $vgpr12
	s_and_saveexec_b64 s[52:53], vcc
	s_cbranch_execz .LBB46_13
; %bb.27:                               ;   in Loop: Header=BB46_20 Depth=2
	ds_cmpst_rtn_b32 v12, v20, v9, v6
	s_mov_b64 s[54:55], 0
	s_waitcnt lgkmcnt(0)
	v_cmp_ne_u32_e32 vcc, -1, v12
                                        ; implicit-def: $vgpr12
	s_and_saveexec_b64 s[58:59], vcc
	s_cbranch_execz .LBB46_12
; %bb.28:                               ;   in Loop: Header=BB46_20 Depth=2
	v_add_u32_e32 v10, -4, v10
	v_cmp_eq_u32_e32 vcc, 0, v10
	s_mov_b64 s[54:55], exec
	v_add_u32_e32 v12, 1, v11
	s_orn2_b64 s[56:57], vcc, exec
	s_branch .LBB46_12
.LBB46_29:                              ;   in Loop: Header=BB46_11 Depth=1
	s_or_b64 exec, exec, s[30:31]
	s_xor_b64 s[28:29], s[28:29], -1
	s_and_saveexec_b64 s[30:31], s[28:29]
	s_xor_b64 s[28:29], exec, s[30:31]
	s_cbranch_execz .LBB46_10
; %bb.30:                               ;   in Loop: Header=BB46_11 Depth=1
	v_lshl_add_u32 v6, v11, 2, v0
	ds_write_b32 v6, v5
	s_branch .LBB46_10
.LBB46_31:
	s_or_b64 exec, exec, s[8:9]
	s_waitcnt vmcnt(0)
	v_cmp_lt_i32_e32 vcc, v19, v18
	s_waitcnt lgkmcnt(0)
	s_and_saveexec_b64 s[22:23], vcc
	s_cbranch_execz .LBB46_61
; %bb.32:
	v_add_u32_e32 v27, 1, v24
	s_mov_b64 s[28:29], 0
	v_mov_b32_e32 v28, s15
	v_mov_b32_e32 v29, s17
	;; [unrolled: 1-line block ×5, first 2 shown]
	s_branch .LBB46_35
.LBB46_33:                              ;   in Loop: Header=BB46_35 Depth=1
	s_or_b64 exec, exec, s[30:31]
	v_add_u32_e32 v19, 1, v19
	v_cmp_ge_i32_e32 vcc, v19, v18
	s_orn2_b64 s[30:31], vcc, exec
.LBB46_34:                              ;   in Loop: Header=BB46_35 Depth=1
	s_or_b64 exec, exec, s[8:9]
	s_and_b64 s[8:9], exec, s[30:31]
	s_or_b64 s[28:29], s[8:9], s[28:29]
	s_andn2_b64 exec, exec, s[28:29]
	s_cbranch_execz .LBB46_61
.LBB46_35:                              ; =>This Loop Header: Depth=1
                                        ;     Child Loop BB46_36 Depth 2
                                        ;     Child Loop BB46_41 Depth 2
                                        ;       Child Loop BB46_50 Depth 3
	v_ashrrev_i32_e32 v20, 31, v19
	v_lshlrev_b64 v[5:6], 2, v[19:20]
	s_mov_b64 s[8:9], 0
	v_add_co_u32_e32 v5, vcc, s14, v5
	v_addc_co_u32_e32 v6, vcc, v28, v6, vcc
	global_load_dword v9, v[5:6], off
	v_lshlrev_b64 v[5:6], 4, v[19:20]
	v_add_co_u32_e32 v20, vcc, s16, v5
	v_addc_co_u32_e32 v21, vcc, v29, v6, vcc
	global_load_dwordx4 v[5:8], v[20:21], off
	s_waitcnt vmcnt(1)
	v_subrev_u32_e32 v9, s10, v9
	v_ashrrev_i32_e32 v10, 31, v9
	v_lshlrev_b64 v[9:10], 2, v[9:10]
	v_add_co_u32_e32 v22, vcc, s12, v9
	v_addc_co_u32_e32 v23, vcc, v30, v10, vcc
	v_add_co_u32_e32 v33, vcc, s18, v9
	v_addc_co_u32_e32 v34, vcc, v31, v10, vcc
	global_load_dword v11, v[22:23], off offset:4
	global_load_dword v12, v[33:34], off
	v_add_co_u32_e32 v9, vcc, s20, v9
	v_addc_co_u32_e32 v10, vcc, v32, v10, vcc
.LBB46_36:                              ;   Parent Loop BB46_35 Depth=1
                                        ; =>  This Inner Loop Header: Depth=2
	global_load_dword v22, v[9:10], off glc
	s_waitcnt vmcnt(0)
	v_cmp_ne_u32_e32 vcc, 0, v22
	s_or_b64 s[8:9], vcc, s[8:9]
	s_andn2_b64 exec, exec, s[8:9]
	s_cbranch_execnz .LBB46_36
; %bb.37:                               ;   in Loop: Header=BB46_35 Depth=1
	s_or_b64 exec, exec, s[8:9]
	v_subrev_u32_e32 v33, s10, v11
	v_add_u32_e32 v9, -1, v33
	v_cmp_eq_u32_e32 vcc, -1, v12
	v_cndmask_b32_e32 v22, v12, v9, vcc
	v_ashrrev_i32_e32 v23, 31, v22
	v_lshlrev_b64 v[9:10], 4, v[22:23]
	v_mov_b32_e32 v11, s17
	v_add_co_u32_e32 v9, vcc, s16, v9
	v_addc_co_u32_e32 v10, vcc, v11, v10, vcc
	buffer_wbinvl1_vol
	global_load_dwordx4 v[9:12], v[9:10], off
	s_mov_b64 s[30:31], -1
	s_waitcnt vmcnt(0)
	v_cmp_neq_f64_e32 vcc, 0, v[9:10]
	v_cmp_neq_f64_e64 s[8:9], 0, v[11:12]
	s_or_b64 s[34:35], vcc, s[8:9]
	s_and_saveexec_b64 s[8:9], s[34:35]
	s_cbranch_execz .LBB46_34
; %bb.38:                               ;   in Loop: Header=BB46_35 Depth=1
	v_mul_f64 v[34:35], v[11:12], v[11:12]
	v_fma_f64 v[34:35], v[9:10], v[9:10], v[34:35]
	v_div_scale_f64 v[36:37], s[30:31], v[34:35], v[34:35], 1.0
	v_rcp_f64_e32 v[38:39], v[36:37]
	v_fma_f64 v[40:41], -v[36:37], v[38:39], 1.0
	v_fma_f64 v[38:39], v[38:39], v[40:41], v[38:39]
	v_div_scale_f64 v[40:41], vcc, 1.0, v[34:35], 1.0
	v_fma_f64 v[42:43], -v[36:37], v[38:39], 1.0
	v_fma_f64 v[38:39], v[38:39], v[42:43], v[38:39]
	v_mul_f64 v[42:43], v[40:41], v[38:39]
	v_fma_f64 v[36:37], -v[36:37], v[42:43], v[40:41]
	v_div_fmas_f64 v[36:37], v[36:37], v[38:39], v[42:43]
	v_mul_f64 v[38:39], v[7:8], v[11:12]
	v_mul_f64 v[11:12], v[11:12], -v[5:6]
	v_fma_f64 v[5:6], v[5:6], v[9:10], v[38:39]
	v_fma_f64 v[7:8], v[7:8], v[9:10], v[11:12]
	v_add_u32_e32 v9, v27, v22
	v_cmp_lt_i32_e32 vcc, v9, v33
	v_div_fixup_f64 v[34:35], v[36:37], v[34:35], 1.0
	v_mul_f64 v[5:6], v[5:6], v[34:35]
	v_mul_f64 v[7:8], v[7:8], v[34:35]
	global_store_dwordx4 v[20:21], v[5:8], off
	s_and_saveexec_b64 s[30:31], vcc
	s_cbranch_execz .LBB46_33
; %bb.39:                               ;   in Loop: Header=BB46_35 Depth=1
	s_mov_b64 s[34:35], 0
	s_branch .LBB46_41
.LBB46_40:                              ;   in Loop: Header=BB46_41 Depth=2
	s_or_b64 exec, exec, s[38:39]
	v_add_u32_e32 v9, 64, v9
	v_cmp_ge_i32_e32 vcc, v9, v33
	s_or_b64 s[34:35], vcc, s[34:35]
	s_andn2_b64 exec, exec, s[34:35]
	s_cbranch_execz .LBB46_33
.LBB46_41:                              ;   Parent Loop BB46_35 Depth=1
                                        ; =>  This Loop Header: Depth=2
                                        ;       Child Loop BB46_50 Depth 3
	v_ashrrev_i32_e32 v10, 31, v9
	v_lshlrev_b64 v[11:12], 2, v[9:10]
	v_mov_b32_e32 v20, s15
	v_add_co_u32_e32 v11, vcc, s14, v11
	v_addc_co_u32_e32 v12, vcc, v20, v12, vcc
	global_load_dword v11, v[11:12], off
	v_mov_b32_e32 v12, 64
	s_mov_b64 s[40:41], 0
                                        ; implicit-def: $sgpr38_sgpr39
                                        ; implicit-def: $sgpr42_sgpr43
                                        ; implicit-def: $sgpr44_sgpr45
	s_waitcnt vmcnt(0)
	v_mul_lo_u32 v21, v11, 39
	s_branch .LBB46_50
.LBB46_42:                              ;   in Loop: Header=BB46_50 Depth=3
	s_or_b64 exec, exec, s[64:65]
	s_orn2_b64 s[60:61], s[60:61], exec
	s_orn2_b64 s[62:63], s[62:63], exec
.LBB46_43:                              ;   in Loop: Header=BB46_50 Depth=3
	s_or_b64 exec, exec, s[58:59]
	s_and_b64 s[60:61], s[60:61], exec
	s_orn2_b64 s[58:59], s[62:63], exec
.LBB46_44:                              ;   in Loop: Header=BB46_50 Depth=3
	s_or_b64 exec, exec, s[56:57]
	s_orn2_b64 s[60:61], s[60:61], exec
	s_orn2_b64 s[56:57], s[58:59], exec
.LBB46_45:                              ;   in Loop: Header=BB46_50 Depth=3
	s_or_b64 exec, exec, s[54:55]
	s_and_b64 s[58:59], s[60:61], exec
	s_orn2_b64 s[54:55], s[56:57], exec
.LBB46_46:                              ;   in Loop: Header=BB46_50 Depth=3
	s_or_b64 exec, exec, s[52:53]
	s_orn2_b64 s[52:53], s[58:59], exec
	s_orn2_b64 s[54:55], s[54:55], exec
.LBB46_47:                              ;   in Loop: Header=BB46_50 Depth=3
	s_or_b64 exec, exec, s[50:51]
	s_and_b64 s[52:53], s[52:53], exec
	s_orn2_b64 s[50:51], s[54:55], exec
.LBB46_48:                              ;   in Loop: Header=BB46_50 Depth=3
	s_or_b64 exec, exec, s[48:49]
	s_andn2_b64 s[44:45], s[44:45], exec
	s_and_b64 s[48:49], s[52:53], exec
	s_or_b64 s[44:45], s[44:45], s[48:49]
	s_andn2_b64 s[42:43], s[42:43], exec
	s_and_b64 s[48:49], s[50:51], exec
	s_or_b64 s[42:43], s[42:43], s[48:49]
.LBB46_49:                              ;   in Loop: Header=BB46_50 Depth=3
	s_or_b64 exec, exec, s[46:47]
	s_and_b64 s[46:47], exec, s[42:43]
	s_or_b64 s[40:41], s[46:47], s[40:41]
	s_andn2_b64 s[38:39], s[38:39], exec
	s_and_b64 s[46:47], s[44:45], exec
	s_or_b64 s[38:39], s[38:39], s[46:47]
	s_andn2_b64 exec, exec, s[40:41]
	s_cbranch_execz .LBB46_59
.LBB46_50:                              ;   Parent Loop BB46_35 Depth=1
                                        ;     Parent Loop BB46_41 Depth=2
                                        ; =>    This Inner Loop Header: Depth=3
	v_and_b32_e32 v20, 63, v21
	v_lshl_add_u32 v22, v20, 2, v26
	ds_read_b32 v22, v22
	s_or_b64 s[44:45], s[44:45], exec
	s_or_b64 s[42:43], s[42:43], exec
	s_waitcnt lgkmcnt(0)
	v_cmp_ne_u32_e32 vcc, -1, v22
	s_and_saveexec_b64 s[46:47], vcc
	s_cbranch_execz .LBB46_49
; %bb.51:                               ;   in Loop: Header=BB46_50 Depth=3
	v_cmp_ne_u32_e32 vcc, v22, v11
	s_mov_b64 s[50:51], -1
	s_mov_b64 s[52:53], 0
	s_and_saveexec_b64 s[48:49], vcc
	s_cbranch_execz .LBB46_48
; %bb.52:                               ;   in Loop: Header=BB46_50 Depth=3
	v_add_u32_e32 v20, 1, v21
	v_and_b32_e32 v20, 63, v20
	v_lshl_add_u32 v22, v20, 2, v26
	ds_read_b32 v22, v22
	s_mov_b64 s[54:55], -1
	s_mov_b64 s[52:53], -1
	s_waitcnt lgkmcnt(0)
	v_cmp_ne_u32_e32 vcc, -1, v22
	s_and_saveexec_b64 s[50:51], vcc
	s_cbranch_execz .LBB46_47
; %bb.53:                               ;   in Loop: Header=BB46_50 Depth=3
	v_cmp_ne_u32_e32 vcc, v22, v11
	s_mov_b64 s[58:59], 0
	s_and_saveexec_b64 s[52:53], vcc
	s_cbranch_execz .LBB46_46
; %bb.54:                               ;   in Loop: Header=BB46_50 Depth=3
	v_add_u32_e32 v20, 2, v21
	v_and_b32_e32 v20, 63, v20
	v_lshl_add_u32 v22, v20, 2, v26
	ds_read_b32 v22, v22
	s_mov_b64 s[56:57], -1
	s_mov_b64 s[60:61], -1
	s_waitcnt lgkmcnt(0)
	v_cmp_ne_u32_e32 vcc, -1, v22
	s_and_saveexec_b64 s[54:55], vcc
	s_cbranch_execz .LBB46_45
; %bb.55:                               ;   in Loop: Header=BB46_50 Depth=3
	v_cmp_ne_u32_e32 vcc, v22, v11
	s_mov_b64 s[58:59], -1
	s_mov_b64 s[60:61], 0
	s_and_saveexec_b64 s[56:57], vcc
	s_cbranch_execz .LBB46_44
; %bb.56:                               ;   in Loop: Header=BB46_50 Depth=3
	v_add_u32_e32 v20, 3, v21
	v_and_b32_e32 v20, 63, v20
	v_lshl_add_u32 v21, v20, 2, v26
	ds_read_b32 v22, v21
	s_mov_b64 s[62:63], -1
	s_mov_b64 s[60:61], -1
                                        ; implicit-def: $vgpr21
	s_waitcnt lgkmcnt(0)
	v_cmp_ne_u32_e32 vcc, -1, v22
	s_and_saveexec_b64 s[58:59], vcc
	s_cbranch_execz .LBB46_43
; %bb.57:                               ;   in Loop: Header=BB46_50 Depth=3
	v_cmp_ne_u32_e32 vcc, v22, v11
	s_mov_b64 s[60:61], 0
                                        ; implicit-def: $vgpr21
	s_and_saveexec_b64 s[64:65], vcc
	s_cbranch_execz .LBB46_42
; %bb.58:                               ;   in Loop: Header=BB46_50 Depth=3
	v_add_u32_e32 v12, -4, v12
	v_cmp_eq_u32_e32 vcc, 0, v12
	s_mov_b64 s[60:61], exec
	v_add_u32_e32 v21, 1, v20
	s_orn2_b64 s[62:63], vcc, exec
	s_branch .LBB46_42
.LBB46_59:                              ;   in Loop: Header=BB46_41 Depth=2
	s_or_b64 exec, exec, s[40:41]
	s_xor_b64 s[38:39], s[38:39], -1
	s_and_saveexec_b64 s[40:41], s[38:39]
	s_xor_b64 s[38:39], exec, s[40:41]
	s_cbranch_execz .LBB46_40
; %bb.60:                               ;   in Loop: Header=BB46_41 Depth=2
	v_lshl_add_u32 v11, v20, 2, v0
	ds_read_b32 v11, v11
	v_lshlrev_b64 v[20:21], 4, v[9:10]
	v_mov_b32_e32 v22, s17
	v_add_co_u32_e32 v38, vcc, s16, v20
	s_waitcnt lgkmcnt(0)
	v_ashrrev_i32_e32 v12, 31, v11
	v_lshlrev_b64 v[10:11], 4, v[11:12]
	v_addc_co_u32_e32 v39, vcc, v22, v21, vcc
	v_add_co_u32_e32 v10, vcc, s16, v10
	v_addc_co_u32_e32 v11, vcc, v22, v11, vcc
	global_load_dwordx4 v[20:23], v[38:39], off
	global_load_dwordx4 v[34:37], v[10:11], off
	s_waitcnt vmcnt(0)
	v_fma_f64 v[34:35], -v[5:6], v[20:21], v[34:35]
	v_fma_f64 v[36:37], -v[7:8], v[20:21], v[36:37]
	v_fma_f64 v[20:21], v[7:8], v[22:23], v[34:35]
	v_fma_f64 v[22:23], -v[5:6], v[22:23], v[36:37]
	global_store_dwordx4 v[10:11], v[20:23], off
	s_branch .LBB46_40
.LBB46_61:
	s_or_b64 exec, exec, s[22:23]
	v_cmp_lt_i32_e32 vcc, -1, v18
	s_and_saveexec_b64 s[12:13], vcc
	s_cbranch_execz .LBB46_83
; %bb.62:
	v_mov_b32_e32 v19, 0
	v_lshlrev_b64 v[5:6], 4, v[18:19]
	v_mov_b32_e32 v0, s17
	v_add_co_u32_e32 v9, vcc, s16, v5
	v_addc_co_u32_e32 v10, vcc, v0, v6, vcc
	global_load_dwordx4 v[5:8], v[9:10], off
                                        ; implicit-def: $vgpr20_vgpr21
	s_waitcnt vmcnt(0)
	v_cmp_gt_f64_e32 vcc, 0, v[5:6]
	v_xor_b32_e32 v0, 0x80000000, v6
	v_xor_b32_e32 v18, 0x80000000, v8
	v_mov_b32_e32 v11, v5
	v_cndmask_b32_e32 v12, v6, v0, vcc
	v_cmp_gt_f64_e32 vcc, 0, v[7:8]
	v_cndmask_b32_e32 v19, v8, v18, vcc
	v_mov_b32_e32 v18, v7
	v_cmp_ngt_f64_e32 vcc, v[11:12], v[18:19]
	s_and_saveexec_b64 s[8:9], vcc
	s_xor_b64 s[8:9], exec, s[8:9]
	s_cbranch_execz .LBB46_66
; %bb.63:
	v_cmp_neq_f64_e32 vcc, 0, v[7:8]
	v_mov_b32_e32 v20, 0
	v_mov_b32_e32 v21, 0
	s_and_saveexec_b64 s[14:15], vcc
	s_cbranch_execz .LBB46_65
; %bb.64:
	v_div_scale_f64 v[20:21], s[16:17], v[18:19], v[18:19], v[11:12]
	s_mov_b32 s16, 0
	s_brev_b32 s17, 8
	v_mov_b32_e32 v0, 0x100
	v_rcp_f64_e32 v[22:23], v[20:21]
	v_fma_f64 v[26:27], -v[20:21], v[22:23], 1.0
	v_fma_f64 v[22:23], v[22:23], v[26:27], v[22:23]
	v_div_scale_f64 v[26:27], vcc, v[11:12], v[18:19], v[11:12]
	v_fma_f64 v[28:29], -v[20:21], v[22:23], 1.0
	v_fma_f64 v[22:23], v[22:23], v[28:29], v[22:23]
	v_mul_f64 v[28:29], v[26:27], v[22:23]
	v_fma_f64 v[20:21], -v[20:21], v[28:29], v[26:27]
	v_div_fmas_f64 v[20:21], v[20:21], v[22:23], v[28:29]
	v_div_fixup_f64 v[11:12], v[20:21], v[18:19], v[11:12]
	v_fma_f64 v[11:12], v[11:12], v[11:12], 1.0
	v_cmp_gt_f64_e32 vcc, s[16:17], v[11:12]
	v_cndmask_b32_e32 v0, 0, v0, vcc
	v_ldexp_f64 v[11:12], v[11:12], v0
	v_mov_b32_e32 v0, 0xffffff80
	v_cndmask_b32_e32 v0, 0, v0, vcc
	v_rsq_f64_e32 v[20:21], v[11:12]
	v_mul_f64 v[22:23], v[11:12], v[20:21]
	v_mul_f64 v[20:21], v[20:21], 0.5
	v_fma_f64 v[26:27], -v[20:21], v[22:23], 0.5
	v_fma_f64 v[22:23], v[22:23], v[26:27], v[22:23]
	v_fma_f64 v[20:21], v[20:21], v[26:27], v[20:21]
	v_fma_f64 v[26:27], -v[22:23], v[22:23], v[11:12]
	v_fma_f64 v[22:23], v[26:27], v[20:21], v[22:23]
	v_fma_f64 v[26:27], -v[22:23], v[22:23], v[11:12]
	v_fma_f64 v[20:21], v[26:27], v[20:21], v[22:23]
	v_mov_b32_e32 v22, 0x260
	v_cmp_class_f64_e32 vcc, v[11:12], v22
	v_ldexp_f64 v[20:21], v[20:21], v0
	v_cndmask_b32_e32 v12, v21, v12, vcc
	v_cndmask_b32_e32 v11, v20, v11, vcc
	v_mul_f64 v[20:21], v[18:19], v[11:12]
.LBB46_65:
	s_or_b64 exec, exec, s[14:15]
                                        ; implicit-def: $vgpr11_vgpr12
                                        ; implicit-def: $vgpr18_vgpr19
.LBB46_66:
	s_andn2_saveexec_b64 s[8:9], s[8:9]
	s_cbranch_execz .LBB46_68
; %bb.67:
	v_div_scale_f64 v[20:21], s[14:15], v[11:12], v[11:12], v[18:19]
	s_mov_b32 s14, 0
	s_brev_b32 s15, 8
	v_mov_b32_e32 v0, 0x100
	v_rcp_f64_e32 v[22:23], v[20:21]
	v_fma_f64 v[26:27], -v[20:21], v[22:23], 1.0
	v_fma_f64 v[22:23], v[22:23], v[26:27], v[22:23]
	v_div_scale_f64 v[26:27], vcc, v[18:19], v[11:12], v[18:19]
	v_fma_f64 v[28:29], -v[20:21], v[22:23], 1.0
	v_fma_f64 v[22:23], v[22:23], v[28:29], v[22:23]
	v_mul_f64 v[28:29], v[26:27], v[22:23]
	v_fma_f64 v[20:21], -v[20:21], v[28:29], v[26:27]
	v_div_fmas_f64 v[20:21], v[20:21], v[22:23], v[28:29]
	v_div_fixup_f64 v[18:19], v[20:21], v[11:12], v[18:19]
	v_fma_f64 v[18:19], v[18:19], v[18:19], 1.0
	v_cmp_gt_f64_e32 vcc, s[14:15], v[18:19]
	v_cndmask_b32_e32 v0, 0, v0, vcc
	v_ldexp_f64 v[18:19], v[18:19], v0
	v_mov_b32_e32 v0, 0xffffff80
	v_cndmask_b32_e32 v0, 0, v0, vcc
	v_rsq_f64_e32 v[20:21], v[18:19]
	v_mul_f64 v[22:23], v[18:19], v[20:21]
	v_mul_f64 v[20:21], v[20:21], 0.5
	v_fma_f64 v[26:27], -v[20:21], v[22:23], 0.5
	v_fma_f64 v[22:23], v[22:23], v[26:27], v[22:23]
	v_fma_f64 v[20:21], v[20:21], v[26:27], v[20:21]
	v_fma_f64 v[26:27], -v[22:23], v[22:23], v[18:19]
	v_fma_f64 v[22:23], v[26:27], v[20:21], v[22:23]
	v_fma_f64 v[26:27], -v[22:23], v[22:23], v[18:19]
	v_fma_f64 v[20:21], v[26:27], v[20:21], v[22:23]
	v_mov_b32_e32 v22, 0x260
	v_cmp_class_f64_e32 vcc, v[18:19], v22
	v_ldexp_f64 v[20:21], v[20:21], v0
	v_cndmask_b32_e32 v19, v21, v19, vcc
	v_cndmask_b32_e32 v18, v20, v18, vcc
	v_mul_f64 v[20:21], v[11:12], v[18:19]
.LBB46_68:
	s_or_b64 exec, exec, s[8:9]
	v_cmp_eq_u32_e64 s[8:9], 0, v24
	s_and_b64 vcc, exec, s[6:7]
	s_mov_b64 s[6:7], -1
	s_cbranch_vccnz .LBB46_72
; %bb.69:
	v_cvt_f64_f32_e32 v[11:12], v25
	s_cmp_eq_u64 s[36:37], 8
	s_cselect_b64 vcc, -1, 0
	v_cndmask_b32_e32 v12, v12, v16, vcc
	v_cndmask_b32_e32 v11, v11, v15, vcc
	v_cmp_le_f64_e32 vcc, v[20:21], v[11:12]
	s_and_b64 s[14:15], s[8:9], vcc
	s_and_saveexec_b64 s[6:7], s[14:15]
	s_cbranch_execz .LBB46_71
; %bb.70:
	global_store_dwordx4 v[9:10], v[1:4], off
	s_waitcnt vmcnt(0)
	buffer_wbinvl1_vol
.LBB46_71:
	s_or_b64 exec, exec, s[6:7]
	s_mov_b64 s[6:7], 0
.LBB46_72:
	s_andn2_b64 vcc, exec, s[6:7]
	s_cbranch_vccnz .LBB46_83
; %bb.73:
	s_load_dwordx2 s[4:5], s[4:5], 0x48
	v_add_u32_e32 v0, s10, v17
	s_waitcnt lgkmcnt(0)
	v_cmp_ge_f64_e32 vcc, s[4:5], v[20:21]
	s_and_b64 s[6:7], s[8:9], vcc
	s_and_saveexec_b64 s[4:5], s[6:7]
	s_cbranch_execz .LBB46_78
; %bb.74:
	s_mov_b64 s[6:7], exec
	s_brev_b32 s10, -2
.LBB46_75:                              ; =>This Inner Loop Header: Depth=1
	s_ff1_i32_b64 s11, s[6:7]
	v_readlane_b32 s16, v0, s11
	s_lshl_b64 s[14:15], 1, s11
	s_min_i32 s10, s10, s16
	s_andn2_b64 s[6:7], s[6:7], s[14:15]
	s_cmp_lg_u64 s[6:7], 0
	s_cbranch_scc1 .LBB46_75
; %bb.76:
	v_mbcnt_lo_u32_b32 v1, exec_lo, 0
	v_mbcnt_hi_u32_b32 v1, exec_hi, v1
	v_cmp_eq_u32_e32 vcc, 0, v1
	s_and_saveexec_b64 s[6:7], vcc
	s_xor_b64 s[6:7], exec, s[6:7]
	s_cbranch_execz .LBB46_78
; %bb.77:
	v_mov_b32_e32 v1, 0
	v_mov_b32_e32 v2, s10
	global_atomic_smin v1, v2, s[26:27]
.LBB46_78:
	s_or_b64 exec, exec, s[4:5]
	v_cmp_eq_f64_e32 vcc, 0, v[5:6]
	v_cmp_eq_f64_e64 s[4:5], 0, v[7:8]
	s_and_b64 s[4:5], vcc, s[4:5]
	s_and_b64 s[4:5], s[8:9], s[4:5]
	s_and_b64 exec, exec, s[4:5]
	s_cbranch_execz .LBB46_83
; %bb.79:
	s_mov_b64 s[4:5], exec
	s_brev_b32 s6, -2
.LBB46_80:                              ; =>This Inner Loop Header: Depth=1
	s_ff1_i32_b64 s7, s[4:5]
	v_readlane_b32 s10, v0, s7
	s_lshl_b64 s[8:9], 1, s7
	s_min_i32 s6, s6, s10
	s_andn2_b64 s[4:5], s[4:5], s[8:9]
	s_cmp_lg_u64 s[4:5], 0
	s_cbranch_scc1 .LBB46_80
; %bb.81:
	v_mbcnt_lo_u32_b32 v0, exec_lo, 0
	v_mbcnt_hi_u32_b32 v0, exec_hi, v0
	v_cmp_eq_u32_e32 vcc, 0, v0
	s_and_saveexec_b64 s[4:5], vcc
	s_xor_b64 s[4:5], exec, s[4:5]
	s_cbranch_execz .LBB46_83
; %bb.82:
	v_mov_b32_e32 v0, 0
	v_mov_b32_e32 v1, s6
	global_atomic_smin v0, v1, s[24:25]
.LBB46_83:
	s_or_b64 exec, exec, s[12:13]
	v_cmp_eq_u32_e32 vcc, 0, v24
	s_waitcnt vmcnt(0)
	buffer_wbinvl1_vol
	s_and_b64 exec, exec, vcc
	s_cbranch_execz .LBB46_85
; %bb.84:
	v_mov_b32_e32 v1, s21
	v_add_co_u32_e32 v0, vcc, s20, v13
	v_addc_co_u32_e32 v1, vcc, v1, v14, vcc
	v_mov_b32_e32 v2, 1
	global_store_dword v[0:1], v2, off
.LBB46_85:
	s_endpgm
	.section	.rodata,"a",@progbits
	.p2align	6, 0x0
	.amdhsa_kernel _ZN9rocsparseL12csrilu0_hashILj256ELj64ELj1E21rocsparse_complex_numIdEEEviPKiS4_PT2_S4_PiS4_S7_S7_d21rocsparse_index_base_imNS_24const_host_device_scalarIfEENS9_IdEENS9_IS5_EEb
		.amdhsa_group_segment_fixed_size 2048
		.amdhsa_private_segment_fixed_size 16
		.amdhsa_kernarg_size 132
		.amdhsa_user_sgpr_count 8
		.amdhsa_user_sgpr_private_segment_buffer 1
		.amdhsa_user_sgpr_dispatch_ptr 0
		.amdhsa_user_sgpr_queue_ptr 0
		.amdhsa_user_sgpr_kernarg_segment_ptr 1
		.amdhsa_user_sgpr_dispatch_id 0
		.amdhsa_user_sgpr_flat_scratch_init 1
		.amdhsa_user_sgpr_private_segment_size 0
		.amdhsa_uses_dynamic_stack 0
		.amdhsa_system_sgpr_private_segment_wavefront_offset 1
		.amdhsa_system_sgpr_workgroup_id_x 1
		.amdhsa_system_sgpr_workgroup_id_y 0
		.amdhsa_system_sgpr_workgroup_id_z 0
		.amdhsa_system_sgpr_workgroup_info 0
		.amdhsa_system_vgpr_workitem_id 0
		.amdhsa_next_free_vgpr 44
		.amdhsa_next_free_sgpr 66
		.amdhsa_reserve_vcc 1
		.amdhsa_reserve_flat_scratch 1
		.amdhsa_float_round_mode_32 0
		.amdhsa_float_round_mode_16_64 0
		.amdhsa_float_denorm_mode_32 3
		.amdhsa_float_denorm_mode_16_64 3
		.amdhsa_dx10_clamp 1
		.amdhsa_ieee_mode 1
		.amdhsa_fp16_overflow 0
		.amdhsa_exception_fp_ieee_invalid_op 0
		.amdhsa_exception_fp_denorm_src 0
		.amdhsa_exception_fp_ieee_div_zero 0
		.amdhsa_exception_fp_ieee_overflow 0
		.amdhsa_exception_fp_ieee_underflow 0
		.amdhsa_exception_fp_ieee_inexact 0
		.amdhsa_exception_int_div_zero 0
	.end_amdhsa_kernel
	.section	.text._ZN9rocsparseL12csrilu0_hashILj256ELj64ELj1E21rocsparse_complex_numIdEEEviPKiS4_PT2_S4_PiS4_S7_S7_d21rocsparse_index_base_imNS_24const_host_device_scalarIfEENS9_IdEENS9_IS5_EEb,"axG",@progbits,_ZN9rocsparseL12csrilu0_hashILj256ELj64ELj1E21rocsparse_complex_numIdEEEviPKiS4_PT2_S4_PiS4_S7_S7_d21rocsparse_index_base_imNS_24const_host_device_scalarIfEENS9_IdEENS9_IS5_EEb,comdat
.Lfunc_end46:
	.size	_ZN9rocsparseL12csrilu0_hashILj256ELj64ELj1E21rocsparse_complex_numIdEEEviPKiS4_PT2_S4_PiS4_S7_S7_d21rocsparse_index_base_imNS_24const_host_device_scalarIfEENS9_IdEENS9_IS5_EEb, .Lfunc_end46-_ZN9rocsparseL12csrilu0_hashILj256ELj64ELj1E21rocsparse_complex_numIdEEEviPKiS4_PT2_S4_PiS4_S7_S7_d21rocsparse_index_base_imNS_24const_host_device_scalarIfEENS9_IdEENS9_IS5_EEb
                                        ; -- End function
	.set _ZN9rocsparseL12csrilu0_hashILj256ELj64ELj1E21rocsparse_complex_numIdEEEviPKiS4_PT2_S4_PiS4_S7_S7_d21rocsparse_index_base_imNS_24const_host_device_scalarIfEENS9_IdEENS9_IS5_EEb.num_vgpr, 44
	.set _ZN9rocsparseL12csrilu0_hashILj256ELj64ELj1E21rocsparse_complex_numIdEEEviPKiS4_PT2_S4_PiS4_S7_S7_d21rocsparse_index_base_imNS_24const_host_device_scalarIfEENS9_IdEENS9_IS5_EEb.num_agpr, 0
	.set _ZN9rocsparseL12csrilu0_hashILj256ELj64ELj1E21rocsparse_complex_numIdEEEviPKiS4_PT2_S4_PiS4_S7_S7_d21rocsparse_index_base_imNS_24const_host_device_scalarIfEENS9_IdEENS9_IS5_EEb.numbered_sgpr, 66
	.set _ZN9rocsparseL12csrilu0_hashILj256ELj64ELj1E21rocsparse_complex_numIdEEEviPKiS4_PT2_S4_PiS4_S7_S7_d21rocsparse_index_base_imNS_24const_host_device_scalarIfEENS9_IdEENS9_IS5_EEb.num_named_barrier, 0
	.set _ZN9rocsparseL12csrilu0_hashILj256ELj64ELj1E21rocsparse_complex_numIdEEEviPKiS4_PT2_S4_PiS4_S7_S7_d21rocsparse_index_base_imNS_24const_host_device_scalarIfEENS9_IdEENS9_IS5_EEb.private_seg_size, 16
	.set _ZN9rocsparseL12csrilu0_hashILj256ELj64ELj1E21rocsparse_complex_numIdEEEviPKiS4_PT2_S4_PiS4_S7_S7_d21rocsparse_index_base_imNS_24const_host_device_scalarIfEENS9_IdEENS9_IS5_EEb.uses_vcc, 1
	.set _ZN9rocsparseL12csrilu0_hashILj256ELj64ELj1E21rocsparse_complex_numIdEEEviPKiS4_PT2_S4_PiS4_S7_S7_d21rocsparse_index_base_imNS_24const_host_device_scalarIfEENS9_IdEENS9_IS5_EEb.uses_flat_scratch, 1
	.set _ZN9rocsparseL12csrilu0_hashILj256ELj64ELj1E21rocsparse_complex_numIdEEEviPKiS4_PT2_S4_PiS4_S7_S7_d21rocsparse_index_base_imNS_24const_host_device_scalarIfEENS9_IdEENS9_IS5_EEb.has_dyn_sized_stack, 0
	.set _ZN9rocsparseL12csrilu0_hashILj256ELj64ELj1E21rocsparse_complex_numIdEEEviPKiS4_PT2_S4_PiS4_S7_S7_d21rocsparse_index_base_imNS_24const_host_device_scalarIfEENS9_IdEENS9_IS5_EEb.has_recursion, 0
	.set _ZN9rocsparseL12csrilu0_hashILj256ELj64ELj1E21rocsparse_complex_numIdEEEviPKiS4_PT2_S4_PiS4_S7_S7_d21rocsparse_index_base_imNS_24const_host_device_scalarIfEENS9_IdEENS9_IS5_EEb.has_indirect_call, 0
	.section	.AMDGPU.csdata,"",@progbits
; Kernel info:
; codeLenInByte = 3300
; TotalNumSgprs: 72
; NumVgprs: 44
; ScratchSize: 16
; MemoryBound: 0
; FloatMode: 240
; IeeeMode: 1
; LDSByteSize: 2048 bytes/workgroup (compile time only)
; SGPRBlocks: 8
; VGPRBlocks: 10
; NumSGPRsForWavesPerEU: 72
; NumVGPRsForWavesPerEU: 44
; Occupancy: 5
; WaveLimiterHint : 1
; COMPUTE_PGM_RSRC2:SCRATCH_EN: 1
; COMPUTE_PGM_RSRC2:USER_SGPR: 8
; COMPUTE_PGM_RSRC2:TRAP_HANDLER: 0
; COMPUTE_PGM_RSRC2:TGID_X_EN: 1
; COMPUTE_PGM_RSRC2:TGID_Y_EN: 0
; COMPUTE_PGM_RSRC2:TGID_Z_EN: 0
; COMPUTE_PGM_RSRC2:TIDIG_COMP_CNT: 0
	.section	.text._ZN9rocsparseL12csrilu0_hashILj256ELj64ELj2E21rocsparse_complex_numIdEEEviPKiS4_PT2_S4_PiS4_S7_S7_d21rocsparse_index_base_imNS_24const_host_device_scalarIfEENS9_IdEENS9_IS5_EEb,"axG",@progbits,_ZN9rocsparseL12csrilu0_hashILj256ELj64ELj2E21rocsparse_complex_numIdEEEviPKiS4_PT2_S4_PiS4_S7_S7_d21rocsparse_index_base_imNS_24const_host_device_scalarIfEENS9_IdEENS9_IS5_EEb,comdat
	.globl	_ZN9rocsparseL12csrilu0_hashILj256ELj64ELj2E21rocsparse_complex_numIdEEEviPKiS4_PT2_S4_PiS4_S7_S7_d21rocsparse_index_base_imNS_24const_host_device_scalarIfEENS9_IdEENS9_IS5_EEb ; -- Begin function _ZN9rocsparseL12csrilu0_hashILj256ELj64ELj2E21rocsparse_complex_numIdEEEviPKiS4_PT2_S4_PiS4_S7_S7_d21rocsparse_index_base_imNS_24const_host_device_scalarIfEENS9_IdEENS9_IS5_EEb
	.p2align	8
	.type	_ZN9rocsparseL12csrilu0_hashILj256ELj64ELj2E21rocsparse_complex_numIdEEEviPKiS4_PT2_S4_PiS4_S7_S7_d21rocsparse_index_base_imNS_24const_host_device_scalarIfEENS9_IdEENS9_IS5_EEb,@function
_ZN9rocsparseL12csrilu0_hashILj256ELj64ELj2E21rocsparse_complex_numIdEEEviPKiS4_PT2_S4_PiS4_S7_S7_d21rocsparse_index_base_imNS_24const_host_device_scalarIfEENS9_IdEENS9_IS5_EEb: ; @_ZN9rocsparseL12csrilu0_hashILj256ELj64ELj2E21rocsparse_complex_numIdEEEviPKiS4_PT2_S4_PiS4_S7_S7_d21rocsparse_index_base_imNS_24const_host_device_scalarIfEENS9_IdEENS9_IS5_EEb
; %bb.0:
	s_add_u32 flat_scratch_lo, s6, s9
	s_load_dword s6, s[4:5], 0x80
	s_load_dwordx8 s[36:43], s[4:5], 0x58
	s_load_dwordx2 s[12:13], s[4:5], 0x78
	s_load_dwordx2 s[10:11], s[4:5], 0x50
	s_addc_u32 flat_scratch_hi, s7, 0
	s_add_u32 s0, s0, s9
	s_addc_u32 s1, s1, 0
	s_waitcnt lgkmcnt(0)
	s_bitcmp1_b32 s6, 0
	s_cselect_b64 s[14:15], -1, 0
	s_cmp_eq_u32 s11, 0
	s_cselect_b64 s[20:21], -1, 0
	s_cmp_lg_u32 s11, 0
	s_cselect_b64 s[16:17], -1, 0
	s_or_b64 s[22:23], s[20:21], s[14:15]
	s_xor_b64 s[6:7], s[22:23], -1
	v_mov_b32_e32 v1, s43
	s_and_b64 s[18:19], s[20:21], exec
	buffer_store_dword v1, off, s[0:3], 0 offset:4
	v_mov_b32_e32 v1, s42
	s_cselect_b32 s19, 0, s41
	s_cselect_b32 s18, 0, s40
	s_and_b64 vcc, exec, s[22:23]
	buffer_store_dword v1, off, s[0:3], 0
	s_cbranch_vccnz .LBB47_2
; %bb.1:
	s_load_dword s9, s[38:39], 0x0
	s_mov_b64 s[18:19], s[40:41]
	s_waitcnt lgkmcnt(0)
	v_mov_b32_e32 v25, s9
	v_mov_b32_e32 v15, s18
	s_andn2_b64 vcc, exec, s[6:7]
	v_mov_b32_e32 v16, s19
	s_cbranch_vccz .LBB47_3
	s_branch .LBB47_4
.LBB47_2:
	v_mov_b32_e32 v1, s38
	v_cndmask_b32_e64 v25, v1, 0, s[20:21]
	v_mov_b32_e32 v15, s18
	s_andn2_b64 vcc, exec, s[6:7]
	v_mov_b32_e32 v16, s19
	s_cbranch_vccnz .LBB47_4
.LBB47_3:
	v_mov_b32_e32 v1, s40
	v_mov_b32_e32 v2, s41
	flat_load_dwordx2 v[15:16], v[1:2]
.LBB47_4:
	v_cndmask_b32_e64 v1, 0, 1, s[16:17]
	v_mov_b32_e32 v3, 0
	v_cmp_ne_u32_e64 s[6:7], 1, v1
	v_mov_b32_e32 v1, 0
	v_mov_b32_e32 v4, 0
	s_andn2_b64 vcc, exec, s[16:17]
	v_mov_b32_e32 v2, 0
	s_cbranch_vccnz .LBB47_7
; %bb.5:
	s_xor_b64 s[18:19], s[14:15], -1
	s_mov_b64 s[16:17], src_private_base
	s_and_b64 s[14:15], s[14:15], exec
	s_cselect_b32 s9, s17, s43
	s_cselect_b32 s11, 0, s42
	v_mov_b32_e32 v1, s11
	v_mov_b32_e32 v2, s9
	flat_load_dwordx2 v[1:2], v[1:2]
	v_mov_b32_e32 v3, s12
	s_andn2_b64 vcc, exec, s[18:19]
	v_mov_b32_e32 v4, s13
	s_cbranch_vccnz .LBB47_7
; %bb.6:
	v_mov_b32_e32 v3, s42
	v_mov_b32_e32 v4, s43
	flat_load_dwordx2 v[3:4], v[3:4] offset:8
.LBB47_7:
	v_and_b32_e32 v24, 63, v0
	v_lshrrev_b32_e32 v5, 6, v0
	v_lshlrev_b32_e32 v7, 9, v5
	v_lshlrev_b32_e32 v8, 2, v24
	s_movk_i32 s9, 0x800
	v_or_b32_e32 v6, 0xffffffc0, v24
	v_or3_b32 v7, v7, v8, s9
	s_mov_b64 s[12:13], 0
	v_mov_b32_e32 v8, -1
.LBB47_8:                               ; =>This Inner Loop Header: Depth=1
	v_add_co_u32_e32 v6, vcc, 64, v6
	s_xor_b64 s[14:15], vcc, -1
	s_and_b64 s[14:15], exec, s[14:15]
	ds_write_b32 v7, v8
	s_or_b64 s[12:13], s[14:15], s[12:13]
	v_add_u32_e32 v7, 0x100, v7
	s_andn2_b64 exec, exec, s[12:13]
	s_cbranch_execnz .LBB47_8
; %bb.9:
	s_or_b64 exec, exec, s[12:13]
	s_load_dword s9, s[4:5], 0x0
	s_lshl_b32 s8, s8, 2
	s_and_b32 s8, s8, 0x3fffffc
	v_or_b32_e32 v5, s8, v5
	s_waitcnt lgkmcnt(0)
	v_cmp_gt_i32_e32 vcc, s9, v5
	s_and_saveexec_b64 s[8:9], vcc
	s_cbranch_execz .LBB47_87
; %bb.10:
	s_load_dwordx16 s[12:27], s[4:5], 0x8
	v_lshlrev_b32_e32 v5, 2, v5
	v_lshlrev_b32_e32 v0, 3, v0
	v_and_b32_e32 v0, 0x600, v0
	v_or_b32_e32 v26, 0x800, v0
	s_waitcnt lgkmcnt(0)
	global_load_dword v17, v5, s[22:23]
	v_mov_b32_e32 v6, s13
	v_mov_b32_e32 v8, s19
	s_waitcnt vmcnt(0)
	v_ashrrev_i32_e32 v18, 31, v17
	v_lshlrev_b64 v[13:14], 2, v[17:18]
	v_add_co_u32_e32 v5, vcc, s12, v13
	v_addc_co_u32_e32 v6, vcc, v6, v14, vcc
	global_load_dwordx2 v[5:6], v[5:6], off
	v_add_co_u32_e32 v7, vcc, s18, v13
	v_addc_co_u32_e32 v8, vcc, v8, v14, vcc
	global_load_dword v18, v[7:8], off
	s_waitcnt vmcnt(1)
	v_subrev_u32_e32 v19, s10, v5
	v_subrev_u32_e32 v7, s10, v6
	v_add_u32_e32 v5, v19, v24
	v_cmp_lt_i32_e32 vcc, v5, v7
	s_and_saveexec_b64 s[8:9], vcc
	s_cbranch_execz .LBB47_33
; %bb.11:
	s_mov_b64 s[22:23], 0
	v_mov_b32_e32 v8, s15
	s_movk_i32 s11, 0x67
	v_mov_b32_e32 v9, -1
	s_branch .LBB47_13
.LBB47_12:                              ;   in Loop: Header=BB47_13 Depth=1
	s_or_b64 exec, exec, s[28:29]
	v_add_u32_e32 v5, 64, v5
	v_cmp_ge_i32_e32 vcc, v5, v7
	s_or_b64 s[22:23], vcc, s[22:23]
	s_andn2_b64 exec, exec, s[22:23]
	s_cbranch_execz .LBB47_33
.LBB47_13:                              ; =>This Loop Header: Depth=1
                                        ;     Child Loop BB47_22 Depth 2
	v_ashrrev_i32_e32 v6, 31, v5
	v_lshlrev_b64 v[10:11], 2, v[5:6]
	s_mov_b64 s[30:31], 0
	v_add_co_u32_e32 v10, vcc, s14, v10
	v_addc_co_u32_e32 v11, vcc, v8, v11, vcc
	global_load_dword v6, v[10:11], off
	v_mov_b32_e32 v10, 0x80
                                        ; implicit-def: $sgpr28_sgpr29
                                        ; implicit-def: $sgpr34_sgpr35
                                        ; implicit-def: $sgpr38_sgpr39
	s_waitcnt vmcnt(0)
	v_mul_lo_u32 v12, v6, s11
	s_branch .LBB47_22
.LBB47_14:                              ;   in Loop: Header=BB47_22 Depth=2
	s_or_b64 exec, exec, s[58:59]
	s_orn2_b64 s[54:55], s[54:55], exec
	s_orn2_b64 s[56:57], s[56:57], exec
.LBB47_15:                              ;   in Loop: Header=BB47_22 Depth=2
	s_or_b64 exec, exec, s[52:53]
	s_and_b64 s[54:55], s[54:55], exec
	s_orn2_b64 s[52:53], s[56:57], exec
.LBB47_16:                              ;   in Loop: Header=BB47_22 Depth=2
	s_or_b64 exec, exec, s[50:51]
	s_orn2_b64 s[54:55], s[54:55], exec
	s_orn2_b64 s[50:51], s[52:53], exec
.LBB47_17:                              ;   in Loop: Header=BB47_22 Depth=2
	s_or_b64 exec, exec, s[48:49]
	s_and_b64 s[52:53], s[54:55], exec
	s_orn2_b64 s[48:49], s[50:51], exec
.LBB47_18:                              ;   in Loop: Header=BB47_22 Depth=2
	s_or_b64 exec, exec, s[46:47]
	s_orn2_b64 s[46:47], s[52:53], exec
	s_orn2_b64 s[48:49], s[48:49], exec
.LBB47_19:                              ;   in Loop: Header=BB47_22 Depth=2
	s_or_b64 exec, exec, s[44:45]
	s_and_b64 s[46:47], s[46:47], exec
	s_orn2_b64 s[44:45], s[48:49], exec
.LBB47_20:                              ;   in Loop: Header=BB47_22 Depth=2
	s_or_b64 exec, exec, s[42:43]
	s_andn2_b64 s[38:39], s[38:39], exec
	s_and_b64 s[42:43], s[46:47], exec
	s_or_b64 s[38:39], s[38:39], s[42:43]
	s_andn2_b64 s[34:35], s[34:35], exec
	s_and_b64 s[42:43], s[44:45], exec
	s_or_b64 s[34:35], s[34:35], s[42:43]
.LBB47_21:                              ;   in Loop: Header=BB47_22 Depth=2
	s_or_b64 exec, exec, s[40:41]
	s_and_b64 s[40:41], exec, s[34:35]
	s_or_b64 s[30:31], s[40:41], s[30:31]
	s_andn2_b64 s[28:29], s[28:29], exec
	s_and_b64 s[40:41], s[38:39], exec
	s_or_b64 s[28:29], s[28:29], s[40:41]
	s_andn2_b64 exec, exec, s[30:31]
	s_cbranch_execz .LBB47_31
.LBB47_22:                              ;   Parent Loop BB47_13 Depth=1
                                        ; =>  This Inner Loop Header: Depth=2
	v_and_b32_e32 v11, 0x7f, v12
	v_lshl_add_u32 v20, v11, 2, v26
	ds_read_b32 v21, v20
	s_or_b64 s[38:39], s[38:39], exec
	s_or_b64 s[34:35], s[34:35], exec
	s_waitcnt lgkmcnt(0)
	v_cmp_ne_u32_e32 vcc, v21, v6
	s_and_saveexec_b64 s[40:41], vcc
	s_cbranch_execz .LBB47_21
; %bb.23:                               ;   in Loop: Header=BB47_22 Depth=2
	ds_cmpst_rtn_b32 v20, v20, v9, v6
	s_mov_b64 s[44:45], -1
	s_mov_b64 s[46:47], 0
	s_waitcnt lgkmcnt(0)
	v_cmp_ne_u32_e32 vcc, -1, v20
	s_and_saveexec_b64 s[42:43], vcc
	s_cbranch_execz .LBB47_20
; %bb.24:                               ;   in Loop: Header=BB47_22 Depth=2
	v_add_u32_e32 v11, 1, v12
	v_and_b32_e32 v11, 0x7f, v11
	v_lshl_add_u32 v20, v11, 2, v26
	ds_read_b32 v21, v20
	s_mov_b64 s[48:49], -1
	s_mov_b64 s[46:47], -1
	s_waitcnt lgkmcnt(0)
	v_cmp_ne_u32_e32 vcc, v21, v6
	s_and_saveexec_b64 s[44:45], vcc
	s_cbranch_execz .LBB47_19
; %bb.25:                               ;   in Loop: Header=BB47_22 Depth=2
	ds_cmpst_rtn_b32 v20, v20, v9, v6
	s_mov_b64 s[52:53], 0
	s_waitcnt lgkmcnt(0)
	v_cmp_ne_u32_e32 vcc, -1, v20
	s_and_saveexec_b64 s[46:47], vcc
	s_cbranch_execz .LBB47_18
; %bb.26:                               ;   in Loop: Header=BB47_22 Depth=2
	v_add_u32_e32 v11, 2, v12
	v_and_b32_e32 v11, 0x7f, v11
	v_lshl_add_u32 v20, v11, 2, v26
	ds_read_b32 v21, v20
	s_mov_b64 s[50:51], -1
	s_mov_b64 s[54:55], -1
	s_waitcnt lgkmcnt(0)
	v_cmp_ne_u32_e32 vcc, v21, v6
	s_and_saveexec_b64 s[48:49], vcc
	s_cbranch_execz .LBB47_17
; %bb.27:                               ;   in Loop: Header=BB47_22 Depth=2
	ds_cmpst_rtn_b32 v20, v20, v9, v6
	s_mov_b64 s[52:53], -1
	s_mov_b64 s[54:55], 0
	s_waitcnt lgkmcnt(0)
	v_cmp_ne_u32_e32 vcc, -1, v20
	s_and_saveexec_b64 s[50:51], vcc
	s_cbranch_execz .LBB47_16
; %bb.28:                               ;   in Loop: Header=BB47_22 Depth=2
	v_add_u32_e32 v11, 3, v12
	v_and_b32_e32 v11, 0x7f, v11
	v_lshl_add_u32 v20, v11, 2, v26
	ds_read_b32 v12, v20
	s_mov_b64 s[56:57], -1
	s_mov_b64 s[54:55], -1
	s_waitcnt lgkmcnt(0)
	v_cmp_ne_u32_e32 vcc, v12, v6
                                        ; implicit-def: $vgpr12
	s_and_saveexec_b64 s[52:53], vcc
	s_cbranch_execz .LBB47_15
; %bb.29:                               ;   in Loop: Header=BB47_22 Depth=2
	ds_cmpst_rtn_b32 v12, v20, v9, v6
	s_mov_b64 s[54:55], 0
	s_waitcnt lgkmcnt(0)
	v_cmp_ne_u32_e32 vcc, -1, v12
                                        ; implicit-def: $vgpr12
	s_and_saveexec_b64 s[58:59], vcc
	s_cbranch_execz .LBB47_14
; %bb.30:                               ;   in Loop: Header=BB47_22 Depth=2
	v_add_u32_e32 v10, -4, v10
	v_cmp_eq_u32_e32 vcc, 0, v10
	s_mov_b64 s[54:55], exec
	v_add_u32_e32 v12, 1, v11
	s_orn2_b64 s[56:57], vcc, exec
	s_branch .LBB47_14
.LBB47_31:                              ;   in Loop: Header=BB47_13 Depth=1
	s_or_b64 exec, exec, s[30:31]
	s_xor_b64 s[28:29], s[28:29], -1
	s_and_saveexec_b64 s[30:31], s[28:29]
	s_xor_b64 s[28:29], exec, s[30:31]
	s_cbranch_execz .LBB47_12
; %bb.32:                               ;   in Loop: Header=BB47_13 Depth=1
	v_lshl_add_u32 v6, v11, 2, v0
	ds_write_b32 v6, v5
	s_branch .LBB47_12
.LBB47_33:
	s_or_b64 exec, exec, s[8:9]
	s_waitcnt vmcnt(0)
	v_cmp_lt_i32_e32 vcc, v19, v18
	s_waitcnt lgkmcnt(0)
	s_and_saveexec_b64 s[22:23], vcc
	s_cbranch_execz .LBB47_63
; %bb.34:
	v_add_u32_e32 v27, 1, v24
	s_mov_b64 s[28:29], 0
	v_mov_b32_e32 v28, s15
	v_mov_b32_e32 v29, s17
	;; [unrolled: 1-line block ×5, first 2 shown]
	s_movk_i32 s11, 0x67
	s_branch .LBB47_37
.LBB47_35:                              ;   in Loop: Header=BB47_37 Depth=1
	s_or_b64 exec, exec, s[30:31]
	v_add_u32_e32 v19, 1, v19
	v_cmp_ge_i32_e32 vcc, v19, v18
	s_orn2_b64 s[30:31], vcc, exec
.LBB47_36:                              ;   in Loop: Header=BB47_37 Depth=1
	s_or_b64 exec, exec, s[8:9]
	s_and_b64 s[8:9], exec, s[30:31]
	s_or_b64 s[28:29], s[8:9], s[28:29]
	s_andn2_b64 exec, exec, s[28:29]
	s_cbranch_execz .LBB47_63
.LBB47_37:                              ; =>This Loop Header: Depth=1
                                        ;     Child Loop BB47_38 Depth 2
                                        ;     Child Loop BB47_43 Depth 2
                                        ;       Child Loop BB47_52 Depth 3
	v_ashrrev_i32_e32 v20, 31, v19
	v_lshlrev_b64 v[5:6], 2, v[19:20]
	s_mov_b64 s[8:9], 0
	v_add_co_u32_e32 v5, vcc, s14, v5
	v_addc_co_u32_e32 v6, vcc, v28, v6, vcc
	global_load_dword v9, v[5:6], off
	v_lshlrev_b64 v[5:6], 4, v[19:20]
	v_add_co_u32_e32 v20, vcc, s16, v5
	v_addc_co_u32_e32 v21, vcc, v29, v6, vcc
	global_load_dwordx4 v[5:8], v[20:21], off
	s_waitcnt vmcnt(1)
	v_subrev_u32_e32 v9, s10, v9
	v_ashrrev_i32_e32 v10, 31, v9
	v_lshlrev_b64 v[9:10], 2, v[9:10]
	v_add_co_u32_e32 v22, vcc, s12, v9
	v_addc_co_u32_e32 v23, vcc, v30, v10, vcc
	v_add_co_u32_e32 v33, vcc, s18, v9
	v_addc_co_u32_e32 v34, vcc, v31, v10, vcc
	global_load_dword v11, v[22:23], off offset:4
	global_load_dword v12, v[33:34], off
	v_add_co_u32_e32 v9, vcc, s20, v9
	v_addc_co_u32_e32 v10, vcc, v32, v10, vcc
.LBB47_38:                              ;   Parent Loop BB47_37 Depth=1
                                        ; =>  This Inner Loop Header: Depth=2
	global_load_dword v22, v[9:10], off glc
	s_waitcnt vmcnt(0)
	v_cmp_ne_u32_e32 vcc, 0, v22
	s_or_b64 s[8:9], vcc, s[8:9]
	s_andn2_b64 exec, exec, s[8:9]
	s_cbranch_execnz .LBB47_38
; %bb.39:                               ;   in Loop: Header=BB47_37 Depth=1
	s_or_b64 exec, exec, s[8:9]
	v_subrev_u32_e32 v33, s10, v11
	v_add_u32_e32 v9, -1, v33
	v_cmp_eq_u32_e32 vcc, -1, v12
	v_cndmask_b32_e32 v22, v12, v9, vcc
	v_ashrrev_i32_e32 v23, 31, v22
	v_lshlrev_b64 v[9:10], 4, v[22:23]
	buffer_wbinvl1_vol
	v_add_co_u32_e32 v9, vcc, s16, v9
	v_addc_co_u32_e32 v10, vcc, v29, v10, vcc
	global_load_dwordx4 v[9:12], v[9:10], off
	s_mov_b64 s[30:31], -1
	s_waitcnt vmcnt(0)
	v_cmp_neq_f64_e32 vcc, 0, v[9:10]
	v_cmp_neq_f64_e64 s[8:9], 0, v[11:12]
	s_or_b64 s[34:35], vcc, s[8:9]
	s_and_saveexec_b64 s[8:9], s[34:35]
	s_cbranch_execz .LBB47_36
; %bb.40:                               ;   in Loop: Header=BB47_37 Depth=1
	v_mul_f64 v[34:35], v[11:12], v[11:12]
	v_fma_f64 v[34:35], v[9:10], v[9:10], v[34:35]
	v_div_scale_f64 v[36:37], s[30:31], v[34:35], v[34:35], 1.0
	v_rcp_f64_e32 v[38:39], v[36:37]
	v_fma_f64 v[40:41], -v[36:37], v[38:39], 1.0
	v_fma_f64 v[38:39], v[38:39], v[40:41], v[38:39]
	v_div_scale_f64 v[40:41], vcc, 1.0, v[34:35], 1.0
	v_fma_f64 v[42:43], -v[36:37], v[38:39], 1.0
	v_fma_f64 v[38:39], v[38:39], v[42:43], v[38:39]
	v_mul_f64 v[42:43], v[40:41], v[38:39]
	v_fma_f64 v[36:37], -v[36:37], v[42:43], v[40:41]
	v_div_fmas_f64 v[36:37], v[36:37], v[38:39], v[42:43]
	v_mul_f64 v[38:39], v[7:8], v[11:12]
	v_mul_f64 v[11:12], v[11:12], -v[5:6]
	v_fma_f64 v[5:6], v[5:6], v[9:10], v[38:39]
	v_fma_f64 v[7:8], v[7:8], v[9:10], v[11:12]
	v_add_u32_e32 v9, v27, v22
	v_cmp_lt_i32_e32 vcc, v9, v33
	v_div_fixup_f64 v[34:35], v[36:37], v[34:35], 1.0
	v_mul_f64 v[5:6], v[5:6], v[34:35]
	v_mul_f64 v[7:8], v[7:8], v[34:35]
	global_store_dwordx4 v[20:21], v[5:8], off
	s_and_saveexec_b64 s[30:31], vcc
	s_cbranch_execz .LBB47_35
; %bb.41:                               ;   in Loop: Header=BB47_37 Depth=1
	s_mov_b64 s[34:35], 0
	s_branch .LBB47_43
.LBB47_42:                              ;   in Loop: Header=BB47_43 Depth=2
	s_or_b64 exec, exec, s[38:39]
	v_add_u32_e32 v9, 64, v9
	v_cmp_ge_i32_e32 vcc, v9, v33
	s_or_b64 s[34:35], vcc, s[34:35]
	s_andn2_b64 exec, exec, s[34:35]
	s_cbranch_execz .LBB47_35
.LBB47_43:                              ;   Parent Loop BB47_37 Depth=1
                                        ; =>  This Loop Header: Depth=2
                                        ;       Child Loop BB47_52 Depth 3
	v_ashrrev_i32_e32 v10, 31, v9
	v_lshlrev_b64 v[11:12], 2, v[9:10]
	v_mov_b32_e32 v20, s15
	v_add_co_u32_e32 v11, vcc, s14, v11
	v_addc_co_u32_e32 v12, vcc, v20, v12, vcc
	global_load_dword v11, v[11:12], off
	v_mov_b32_e32 v12, 0x80
	s_mov_b64 s[40:41], 0
                                        ; implicit-def: $sgpr38_sgpr39
                                        ; implicit-def: $sgpr42_sgpr43
                                        ; implicit-def: $sgpr44_sgpr45
	s_waitcnt vmcnt(0)
	v_mul_lo_u32 v21, v11, s11
	s_branch .LBB47_52
.LBB47_44:                              ;   in Loop: Header=BB47_52 Depth=3
	s_or_b64 exec, exec, s[64:65]
	s_orn2_b64 s[60:61], s[60:61], exec
	s_orn2_b64 s[62:63], s[62:63], exec
.LBB47_45:                              ;   in Loop: Header=BB47_52 Depth=3
	s_or_b64 exec, exec, s[58:59]
	s_and_b64 s[60:61], s[60:61], exec
	s_orn2_b64 s[58:59], s[62:63], exec
.LBB47_46:                              ;   in Loop: Header=BB47_52 Depth=3
	s_or_b64 exec, exec, s[56:57]
	s_orn2_b64 s[60:61], s[60:61], exec
	s_orn2_b64 s[56:57], s[58:59], exec
.LBB47_47:                              ;   in Loop: Header=BB47_52 Depth=3
	s_or_b64 exec, exec, s[54:55]
	s_and_b64 s[58:59], s[60:61], exec
	s_orn2_b64 s[54:55], s[56:57], exec
.LBB47_48:                              ;   in Loop: Header=BB47_52 Depth=3
	s_or_b64 exec, exec, s[52:53]
	s_orn2_b64 s[52:53], s[58:59], exec
	s_orn2_b64 s[54:55], s[54:55], exec
.LBB47_49:                              ;   in Loop: Header=BB47_52 Depth=3
	s_or_b64 exec, exec, s[50:51]
	s_and_b64 s[52:53], s[52:53], exec
	s_orn2_b64 s[50:51], s[54:55], exec
.LBB47_50:                              ;   in Loop: Header=BB47_52 Depth=3
	s_or_b64 exec, exec, s[48:49]
	s_andn2_b64 s[44:45], s[44:45], exec
	s_and_b64 s[48:49], s[52:53], exec
	s_or_b64 s[44:45], s[44:45], s[48:49]
	s_andn2_b64 s[42:43], s[42:43], exec
	s_and_b64 s[48:49], s[50:51], exec
	s_or_b64 s[42:43], s[42:43], s[48:49]
.LBB47_51:                              ;   in Loop: Header=BB47_52 Depth=3
	s_or_b64 exec, exec, s[46:47]
	s_and_b64 s[46:47], exec, s[42:43]
	s_or_b64 s[40:41], s[46:47], s[40:41]
	s_andn2_b64 s[38:39], s[38:39], exec
	s_and_b64 s[46:47], s[44:45], exec
	s_or_b64 s[38:39], s[38:39], s[46:47]
	s_andn2_b64 exec, exec, s[40:41]
	s_cbranch_execz .LBB47_61
.LBB47_52:                              ;   Parent Loop BB47_37 Depth=1
                                        ;     Parent Loop BB47_43 Depth=2
                                        ; =>    This Inner Loop Header: Depth=3
	v_and_b32_e32 v20, 0x7f, v21
	v_lshl_add_u32 v22, v20, 2, v26
	ds_read_b32 v22, v22
	s_or_b64 s[44:45], s[44:45], exec
	s_or_b64 s[42:43], s[42:43], exec
	s_waitcnt lgkmcnt(0)
	v_cmp_ne_u32_e32 vcc, -1, v22
	s_and_saveexec_b64 s[46:47], vcc
	s_cbranch_execz .LBB47_51
; %bb.53:                               ;   in Loop: Header=BB47_52 Depth=3
	v_cmp_ne_u32_e32 vcc, v22, v11
	s_mov_b64 s[50:51], -1
	s_mov_b64 s[52:53], 0
	s_and_saveexec_b64 s[48:49], vcc
	s_cbranch_execz .LBB47_50
; %bb.54:                               ;   in Loop: Header=BB47_52 Depth=3
	v_add_u32_e32 v20, 1, v21
	v_and_b32_e32 v20, 0x7f, v20
	v_lshl_add_u32 v22, v20, 2, v26
	ds_read_b32 v22, v22
	s_mov_b64 s[54:55], -1
	s_mov_b64 s[52:53], -1
	s_waitcnt lgkmcnt(0)
	v_cmp_ne_u32_e32 vcc, -1, v22
	s_and_saveexec_b64 s[50:51], vcc
	s_cbranch_execz .LBB47_49
; %bb.55:                               ;   in Loop: Header=BB47_52 Depth=3
	v_cmp_ne_u32_e32 vcc, v22, v11
	s_mov_b64 s[58:59], 0
	s_and_saveexec_b64 s[52:53], vcc
	s_cbranch_execz .LBB47_48
; %bb.56:                               ;   in Loop: Header=BB47_52 Depth=3
	v_add_u32_e32 v20, 2, v21
	v_and_b32_e32 v20, 0x7f, v20
	v_lshl_add_u32 v22, v20, 2, v26
	ds_read_b32 v22, v22
	s_mov_b64 s[56:57], -1
	s_mov_b64 s[60:61], -1
	s_waitcnt lgkmcnt(0)
	v_cmp_ne_u32_e32 vcc, -1, v22
	s_and_saveexec_b64 s[54:55], vcc
	s_cbranch_execz .LBB47_47
; %bb.57:                               ;   in Loop: Header=BB47_52 Depth=3
	v_cmp_ne_u32_e32 vcc, v22, v11
	s_mov_b64 s[58:59], -1
	s_mov_b64 s[60:61], 0
	s_and_saveexec_b64 s[56:57], vcc
	s_cbranch_execz .LBB47_46
; %bb.58:                               ;   in Loop: Header=BB47_52 Depth=3
	v_add_u32_e32 v20, 3, v21
	v_and_b32_e32 v20, 0x7f, v20
	v_lshl_add_u32 v21, v20, 2, v26
	ds_read_b32 v22, v21
	s_mov_b64 s[62:63], -1
	s_mov_b64 s[60:61], -1
                                        ; implicit-def: $vgpr21
	s_waitcnt lgkmcnt(0)
	v_cmp_ne_u32_e32 vcc, -1, v22
	s_and_saveexec_b64 s[58:59], vcc
	s_cbranch_execz .LBB47_45
; %bb.59:                               ;   in Loop: Header=BB47_52 Depth=3
	v_cmp_ne_u32_e32 vcc, v22, v11
	s_mov_b64 s[60:61], 0
                                        ; implicit-def: $vgpr21
	s_and_saveexec_b64 s[64:65], vcc
	s_cbranch_execz .LBB47_44
; %bb.60:                               ;   in Loop: Header=BB47_52 Depth=3
	v_add_u32_e32 v12, -4, v12
	v_cmp_eq_u32_e32 vcc, 0, v12
	s_mov_b64 s[60:61], exec
	v_add_u32_e32 v21, 1, v20
	s_orn2_b64 s[62:63], vcc, exec
	s_branch .LBB47_44
.LBB47_61:                              ;   in Loop: Header=BB47_43 Depth=2
	s_or_b64 exec, exec, s[40:41]
	s_xor_b64 s[38:39], s[38:39], -1
	s_and_saveexec_b64 s[40:41], s[38:39]
	s_xor_b64 s[38:39], exec, s[40:41]
	s_cbranch_execz .LBB47_42
; %bb.62:                               ;   in Loop: Header=BB47_43 Depth=2
	v_lshl_add_u32 v11, v20, 2, v0
	ds_read_b32 v11, v11
	v_lshlrev_b64 v[20:21], 4, v[9:10]
	v_mov_b32_e32 v22, s17
	v_add_co_u32_e32 v38, vcc, s16, v20
	s_waitcnt lgkmcnt(0)
	v_ashrrev_i32_e32 v12, 31, v11
	v_lshlrev_b64 v[10:11], 4, v[11:12]
	v_addc_co_u32_e32 v39, vcc, v22, v21, vcc
	v_add_co_u32_e32 v10, vcc, s16, v10
	v_addc_co_u32_e32 v11, vcc, v22, v11, vcc
	global_load_dwordx4 v[20:23], v[38:39], off
	global_load_dwordx4 v[34:37], v[10:11], off
	s_waitcnt vmcnt(0)
	v_fma_f64 v[34:35], -v[5:6], v[20:21], v[34:35]
	v_fma_f64 v[36:37], -v[7:8], v[20:21], v[36:37]
	v_fma_f64 v[20:21], v[7:8], v[22:23], v[34:35]
	v_fma_f64 v[22:23], -v[5:6], v[22:23], v[36:37]
	global_store_dwordx4 v[10:11], v[20:23], off
	s_branch .LBB47_42
.LBB47_63:
	s_or_b64 exec, exec, s[22:23]
	v_cmp_lt_i32_e32 vcc, -1, v18
	s_and_saveexec_b64 s[12:13], vcc
	s_cbranch_execz .LBB47_85
; %bb.64:
	v_mov_b32_e32 v19, 0
	v_lshlrev_b64 v[5:6], 4, v[18:19]
	v_mov_b32_e32 v0, s17
	v_add_co_u32_e32 v9, vcc, s16, v5
	v_addc_co_u32_e32 v10, vcc, v0, v6, vcc
	global_load_dwordx4 v[5:8], v[9:10], off
                                        ; implicit-def: $vgpr20_vgpr21
	s_waitcnt vmcnt(0)
	v_cmp_gt_f64_e32 vcc, 0, v[5:6]
	v_xor_b32_e32 v0, 0x80000000, v6
	v_xor_b32_e32 v18, 0x80000000, v8
	v_mov_b32_e32 v11, v5
	v_cndmask_b32_e32 v12, v6, v0, vcc
	v_cmp_gt_f64_e32 vcc, 0, v[7:8]
	v_cndmask_b32_e32 v19, v8, v18, vcc
	v_mov_b32_e32 v18, v7
	v_cmp_ngt_f64_e32 vcc, v[11:12], v[18:19]
	s_and_saveexec_b64 s[8:9], vcc
	s_xor_b64 s[8:9], exec, s[8:9]
	s_cbranch_execz .LBB47_68
; %bb.65:
	v_cmp_neq_f64_e32 vcc, 0, v[7:8]
	v_mov_b32_e32 v20, 0
	v_mov_b32_e32 v21, 0
	s_and_saveexec_b64 s[14:15], vcc
	s_cbranch_execz .LBB47_67
; %bb.66:
	v_div_scale_f64 v[20:21], s[16:17], v[18:19], v[18:19], v[11:12]
	s_mov_b32 s16, 0
	s_brev_b32 s17, 8
	v_mov_b32_e32 v0, 0x100
	v_rcp_f64_e32 v[22:23], v[20:21]
	v_fma_f64 v[26:27], -v[20:21], v[22:23], 1.0
	v_fma_f64 v[22:23], v[22:23], v[26:27], v[22:23]
	v_div_scale_f64 v[26:27], vcc, v[11:12], v[18:19], v[11:12]
	v_fma_f64 v[28:29], -v[20:21], v[22:23], 1.0
	v_fma_f64 v[22:23], v[22:23], v[28:29], v[22:23]
	v_mul_f64 v[28:29], v[26:27], v[22:23]
	v_fma_f64 v[20:21], -v[20:21], v[28:29], v[26:27]
	v_div_fmas_f64 v[20:21], v[20:21], v[22:23], v[28:29]
	v_div_fixup_f64 v[11:12], v[20:21], v[18:19], v[11:12]
	v_fma_f64 v[11:12], v[11:12], v[11:12], 1.0
	v_cmp_gt_f64_e32 vcc, s[16:17], v[11:12]
	v_cndmask_b32_e32 v0, 0, v0, vcc
	v_ldexp_f64 v[11:12], v[11:12], v0
	v_mov_b32_e32 v0, 0xffffff80
	v_cndmask_b32_e32 v0, 0, v0, vcc
	v_rsq_f64_e32 v[20:21], v[11:12]
	v_mul_f64 v[22:23], v[11:12], v[20:21]
	v_mul_f64 v[20:21], v[20:21], 0.5
	v_fma_f64 v[26:27], -v[20:21], v[22:23], 0.5
	v_fma_f64 v[22:23], v[22:23], v[26:27], v[22:23]
	v_fma_f64 v[20:21], v[20:21], v[26:27], v[20:21]
	v_fma_f64 v[26:27], -v[22:23], v[22:23], v[11:12]
	v_fma_f64 v[22:23], v[26:27], v[20:21], v[22:23]
	v_fma_f64 v[26:27], -v[22:23], v[22:23], v[11:12]
	v_fma_f64 v[20:21], v[26:27], v[20:21], v[22:23]
	v_mov_b32_e32 v22, 0x260
	v_cmp_class_f64_e32 vcc, v[11:12], v22
	v_ldexp_f64 v[20:21], v[20:21], v0
	v_cndmask_b32_e32 v12, v21, v12, vcc
	v_cndmask_b32_e32 v11, v20, v11, vcc
	v_mul_f64 v[20:21], v[18:19], v[11:12]
.LBB47_67:
	s_or_b64 exec, exec, s[14:15]
                                        ; implicit-def: $vgpr11_vgpr12
                                        ; implicit-def: $vgpr18_vgpr19
.LBB47_68:
	s_andn2_saveexec_b64 s[8:9], s[8:9]
	s_cbranch_execz .LBB47_70
; %bb.69:
	v_div_scale_f64 v[20:21], s[14:15], v[11:12], v[11:12], v[18:19]
	s_mov_b32 s14, 0
	s_brev_b32 s15, 8
	v_mov_b32_e32 v0, 0x100
	v_rcp_f64_e32 v[22:23], v[20:21]
	v_fma_f64 v[26:27], -v[20:21], v[22:23], 1.0
	v_fma_f64 v[22:23], v[22:23], v[26:27], v[22:23]
	v_div_scale_f64 v[26:27], vcc, v[18:19], v[11:12], v[18:19]
	v_fma_f64 v[28:29], -v[20:21], v[22:23], 1.0
	v_fma_f64 v[22:23], v[22:23], v[28:29], v[22:23]
	v_mul_f64 v[28:29], v[26:27], v[22:23]
	v_fma_f64 v[20:21], -v[20:21], v[28:29], v[26:27]
	v_div_fmas_f64 v[20:21], v[20:21], v[22:23], v[28:29]
	v_div_fixup_f64 v[18:19], v[20:21], v[11:12], v[18:19]
	v_fma_f64 v[18:19], v[18:19], v[18:19], 1.0
	v_cmp_gt_f64_e32 vcc, s[14:15], v[18:19]
	v_cndmask_b32_e32 v0, 0, v0, vcc
	v_ldexp_f64 v[18:19], v[18:19], v0
	v_mov_b32_e32 v0, 0xffffff80
	v_cndmask_b32_e32 v0, 0, v0, vcc
	v_rsq_f64_e32 v[20:21], v[18:19]
	v_mul_f64 v[22:23], v[18:19], v[20:21]
	v_mul_f64 v[20:21], v[20:21], 0.5
	v_fma_f64 v[26:27], -v[20:21], v[22:23], 0.5
	v_fma_f64 v[22:23], v[22:23], v[26:27], v[22:23]
	v_fma_f64 v[20:21], v[20:21], v[26:27], v[20:21]
	v_fma_f64 v[26:27], -v[22:23], v[22:23], v[18:19]
	v_fma_f64 v[22:23], v[26:27], v[20:21], v[22:23]
	v_fma_f64 v[26:27], -v[22:23], v[22:23], v[18:19]
	v_fma_f64 v[20:21], v[26:27], v[20:21], v[22:23]
	v_mov_b32_e32 v22, 0x260
	v_cmp_class_f64_e32 vcc, v[18:19], v22
	v_ldexp_f64 v[20:21], v[20:21], v0
	v_cndmask_b32_e32 v19, v21, v19, vcc
	v_cndmask_b32_e32 v18, v20, v18, vcc
	v_mul_f64 v[20:21], v[11:12], v[18:19]
.LBB47_70:
	s_or_b64 exec, exec, s[8:9]
	v_cmp_eq_u32_e64 s[8:9], 0, v24
	s_and_b64 vcc, exec, s[6:7]
	s_mov_b64 s[6:7], -1
	s_cbranch_vccnz .LBB47_74
; %bb.71:
	v_cvt_f64_f32_e32 v[11:12], v25
	s_cmp_eq_u64 s[36:37], 8
	s_cselect_b64 vcc, -1, 0
	v_cndmask_b32_e32 v12, v12, v16, vcc
	v_cndmask_b32_e32 v11, v11, v15, vcc
	v_cmp_le_f64_e32 vcc, v[20:21], v[11:12]
	s_and_b64 s[14:15], s[8:9], vcc
	s_and_saveexec_b64 s[6:7], s[14:15]
	s_cbranch_execz .LBB47_73
; %bb.72:
	global_store_dwordx4 v[9:10], v[1:4], off
	s_waitcnt vmcnt(0)
	buffer_wbinvl1_vol
.LBB47_73:
	s_or_b64 exec, exec, s[6:7]
	s_mov_b64 s[6:7], 0
.LBB47_74:
	s_andn2_b64 vcc, exec, s[6:7]
	s_cbranch_vccnz .LBB47_85
; %bb.75:
	s_load_dwordx2 s[4:5], s[4:5], 0x48
	v_add_u32_e32 v0, s10, v17
	s_waitcnt lgkmcnt(0)
	v_cmp_ge_f64_e32 vcc, s[4:5], v[20:21]
	s_and_b64 s[6:7], s[8:9], vcc
	s_and_saveexec_b64 s[4:5], s[6:7]
	s_cbranch_execz .LBB47_80
; %bb.76:
	s_mov_b64 s[6:7], exec
	s_brev_b32 s10, -2
.LBB47_77:                              ; =>This Inner Loop Header: Depth=1
	s_ff1_i32_b64 s11, s[6:7]
	v_readlane_b32 s16, v0, s11
	s_lshl_b64 s[14:15], 1, s11
	s_min_i32 s10, s10, s16
	s_andn2_b64 s[6:7], s[6:7], s[14:15]
	s_cmp_lg_u64 s[6:7], 0
	s_cbranch_scc1 .LBB47_77
; %bb.78:
	v_mbcnt_lo_u32_b32 v1, exec_lo, 0
	v_mbcnt_hi_u32_b32 v1, exec_hi, v1
	v_cmp_eq_u32_e32 vcc, 0, v1
	s_and_saveexec_b64 s[6:7], vcc
	s_xor_b64 s[6:7], exec, s[6:7]
	s_cbranch_execz .LBB47_80
; %bb.79:
	v_mov_b32_e32 v1, 0
	v_mov_b32_e32 v2, s10
	global_atomic_smin v1, v2, s[26:27]
.LBB47_80:
	s_or_b64 exec, exec, s[4:5]
	v_cmp_eq_f64_e32 vcc, 0, v[5:6]
	v_cmp_eq_f64_e64 s[4:5], 0, v[7:8]
	s_and_b64 s[4:5], vcc, s[4:5]
	s_and_b64 s[4:5], s[8:9], s[4:5]
	s_and_b64 exec, exec, s[4:5]
	s_cbranch_execz .LBB47_85
; %bb.81:
	s_mov_b64 s[4:5], exec
	s_brev_b32 s6, -2
.LBB47_82:                              ; =>This Inner Loop Header: Depth=1
	s_ff1_i32_b64 s7, s[4:5]
	v_readlane_b32 s10, v0, s7
	s_lshl_b64 s[8:9], 1, s7
	s_min_i32 s6, s6, s10
	s_andn2_b64 s[4:5], s[4:5], s[8:9]
	s_cmp_lg_u64 s[4:5], 0
	s_cbranch_scc1 .LBB47_82
; %bb.83:
	v_mbcnt_lo_u32_b32 v0, exec_lo, 0
	v_mbcnt_hi_u32_b32 v0, exec_hi, v0
	v_cmp_eq_u32_e32 vcc, 0, v0
	s_and_saveexec_b64 s[4:5], vcc
	s_xor_b64 s[4:5], exec, s[4:5]
	s_cbranch_execz .LBB47_85
; %bb.84:
	v_mov_b32_e32 v0, 0
	v_mov_b32_e32 v1, s6
	global_atomic_smin v0, v1, s[24:25]
.LBB47_85:
	s_or_b64 exec, exec, s[12:13]
	v_cmp_eq_u32_e32 vcc, 0, v24
	s_waitcnt vmcnt(0)
	buffer_wbinvl1_vol
	s_and_b64 exec, exec, vcc
	s_cbranch_execz .LBB47_87
; %bb.86:
	v_mov_b32_e32 v1, s21
	v_add_co_u32_e32 v0, vcc, s20, v13
	v_addc_co_u32_e32 v1, vcc, v1, v14, vcc
	v_mov_b32_e32 v2, 1
	global_store_dword v[0:1], v2, off
.LBB47_87:
	s_endpgm
	.section	.rodata,"a",@progbits
	.p2align	6, 0x0
	.amdhsa_kernel _ZN9rocsparseL12csrilu0_hashILj256ELj64ELj2E21rocsparse_complex_numIdEEEviPKiS4_PT2_S4_PiS4_S7_S7_d21rocsparse_index_base_imNS_24const_host_device_scalarIfEENS9_IdEENS9_IS5_EEb
		.amdhsa_group_segment_fixed_size 4096
		.amdhsa_private_segment_fixed_size 16
		.amdhsa_kernarg_size 132
		.amdhsa_user_sgpr_count 8
		.amdhsa_user_sgpr_private_segment_buffer 1
		.amdhsa_user_sgpr_dispatch_ptr 0
		.amdhsa_user_sgpr_queue_ptr 0
		.amdhsa_user_sgpr_kernarg_segment_ptr 1
		.amdhsa_user_sgpr_dispatch_id 0
		.amdhsa_user_sgpr_flat_scratch_init 1
		.amdhsa_user_sgpr_private_segment_size 0
		.amdhsa_uses_dynamic_stack 0
		.amdhsa_system_sgpr_private_segment_wavefront_offset 1
		.amdhsa_system_sgpr_workgroup_id_x 1
		.amdhsa_system_sgpr_workgroup_id_y 0
		.amdhsa_system_sgpr_workgroup_id_z 0
		.amdhsa_system_sgpr_workgroup_info 0
		.amdhsa_system_vgpr_workitem_id 0
		.amdhsa_next_free_vgpr 44
		.amdhsa_next_free_sgpr 66
		.amdhsa_reserve_vcc 1
		.amdhsa_reserve_flat_scratch 1
		.amdhsa_float_round_mode_32 0
		.amdhsa_float_round_mode_16_64 0
		.amdhsa_float_denorm_mode_32 3
		.amdhsa_float_denorm_mode_16_64 3
		.amdhsa_dx10_clamp 1
		.amdhsa_ieee_mode 1
		.amdhsa_fp16_overflow 0
		.amdhsa_exception_fp_ieee_invalid_op 0
		.amdhsa_exception_fp_denorm_src 0
		.amdhsa_exception_fp_ieee_div_zero 0
		.amdhsa_exception_fp_ieee_overflow 0
		.amdhsa_exception_fp_ieee_underflow 0
		.amdhsa_exception_fp_ieee_inexact 0
		.amdhsa_exception_int_div_zero 0
	.end_amdhsa_kernel
	.section	.text._ZN9rocsparseL12csrilu0_hashILj256ELj64ELj2E21rocsparse_complex_numIdEEEviPKiS4_PT2_S4_PiS4_S7_S7_d21rocsparse_index_base_imNS_24const_host_device_scalarIfEENS9_IdEENS9_IS5_EEb,"axG",@progbits,_ZN9rocsparseL12csrilu0_hashILj256ELj64ELj2E21rocsparse_complex_numIdEEEviPKiS4_PT2_S4_PiS4_S7_S7_d21rocsparse_index_base_imNS_24const_host_device_scalarIfEENS9_IdEENS9_IS5_EEb,comdat
.Lfunc_end47:
	.size	_ZN9rocsparseL12csrilu0_hashILj256ELj64ELj2E21rocsparse_complex_numIdEEEviPKiS4_PT2_S4_PiS4_S7_S7_d21rocsparse_index_base_imNS_24const_host_device_scalarIfEENS9_IdEENS9_IS5_EEb, .Lfunc_end47-_ZN9rocsparseL12csrilu0_hashILj256ELj64ELj2E21rocsparse_complex_numIdEEEviPKiS4_PT2_S4_PiS4_S7_S7_d21rocsparse_index_base_imNS_24const_host_device_scalarIfEENS9_IdEENS9_IS5_EEb
                                        ; -- End function
	.set _ZN9rocsparseL12csrilu0_hashILj256ELj64ELj2E21rocsparse_complex_numIdEEEviPKiS4_PT2_S4_PiS4_S7_S7_d21rocsparse_index_base_imNS_24const_host_device_scalarIfEENS9_IdEENS9_IS5_EEb.num_vgpr, 44
	.set _ZN9rocsparseL12csrilu0_hashILj256ELj64ELj2E21rocsparse_complex_numIdEEEviPKiS4_PT2_S4_PiS4_S7_S7_d21rocsparse_index_base_imNS_24const_host_device_scalarIfEENS9_IdEENS9_IS5_EEb.num_agpr, 0
	.set _ZN9rocsparseL12csrilu0_hashILj256ELj64ELj2E21rocsparse_complex_numIdEEEviPKiS4_PT2_S4_PiS4_S7_S7_d21rocsparse_index_base_imNS_24const_host_device_scalarIfEENS9_IdEENS9_IS5_EEb.numbered_sgpr, 66
	.set _ZN9rocsparseL12csrilu0_hashILj256ELj64ELj2E21rocsparse_complex_numIdEEEviPKiS4_PT2_S4_PiS4_S7_S7_d21rocsparse_index_base_imNS_24const_host_device_scalarIfEENS9_IdEENS9_IS5_EEb.num_named_barrier, 0
	.set _ZN9rocsparseL12csrilu0_hashILj256ELj64ELj2E21rocsparse_complex_numIdEEEviPKiS4_PT2_S4_PiS4_S7_S7_d21rocsparse_index_base_imNS_24const_host_device_scalarIfEENS9_IdEENS9_IS5_EEb.private_seg_size, 16
	.set _ZN9rocsparseL12csrilu0_hashILj256ELj64ELj2E21rocsparse_complex_numIdEEEviPKiS4_PT2_S4_PiS4_S7_S7_d21rocsparse_index_base_imNS_24const_host_device_scalarIfEENS9_IdEENS9_IS5_EEb.uses_vcc, 1
	.set _ZN9rocsparseL12csrilu0_hashILj256ELj64ELj2E21rocsparse_complex_numIdEEEviPKiS4_PT2_S4_PiS4_S7_S7_d21rocsparse_index_base_imNS_24const_host_device_scalarIfEENS9_IdEENS9_IS5_EEb.uses_flat_scratch, 1
	.set _ZN9rocsparseL12csrilu0_hashILj256ELj64ELj2E21rocsparse_complex_numIdEEEviPKiS4_PT2_S4_PiS4_S7_S7_d21rocsparse_index_base_imNS_24const_host_device_scalarIfEENS9_IdEENS9_IS5_EEb.has_dyn_sized_stack, 0
	.set _ZN9rocsparseL12csrilu0_hashILj256ELj64ELj2E21rocsparse_complex_numIdEEEviPKiS4_PT2_S4_PiS4_S7_S7_d21rocsparse_index_base_imNS_24const_host_device_scalarIfEENS9_IdEENS9_IS5_EEb.has_recursion, 0
	.set _ZN9rocsparseL12csrilu0_hashILj256ELj64ELj2E21rocsparse_complex_numIdEEEviPKiS4_PT2_S4_PiS4_S7_S7_d21rocsparse_index_base_imNS_24const_host_device_scalarIfEENS9_IdEENS9_IS5_EEb.has_indirect_call, 0
	.section	.AMDGPU.csdata,"",@progbits
; Kernel info:
; codeLenInByte = 3392
; TotalNumSgprs: 72
; NumVgprs: 44
; ScratchSize: 16
; MemoryBound: 0
; FloatMode: 240
; IeeeMode: 1
; LDSByteSize: 4096 bytes/workgroup (compile time only)
; SGPRBlocks: 8
; VGPRBlocks: 10
; NumSGPRsForWavesPerEU: 72
; NumVGPRsForWavesPerEU: 44
; Occupancy: 5
; WaveLimiterHint : 1
; COMPUTE_PGM_RSRC2:SCRATCH_EN: 1
; COMPUTE_PGM_RSRC2:USER_SGPR: 8
; COMPUTE_PGM_RSRC2:TRAP_HANDLER: 0
; COMPUTE_PGM_RSRC2:TGID_X_EN: 1
; COMPUTE_PGM_RSRC2:TGID_Y_EN: 0
; COMPUTE_PGM_RSRC2:TGID_Z_EN: 0
; COMPUTE_PGM_RSRC2:TIDIG_COMP_CNT: 0
	.section	.text._ZN9rocsparseL12csrilu0_hashILj256ELj64ELj4E21rocsparse_complex_numIdEEEviPKiS4_PT2_S4_PiS4_S7_S7_d21rocsparse_index_base_imNS_24const_host_device_scalarIfEENS9_IdEENS9_IS5_EEb,"axG",@progbits,_ZN9rocsparseL12csrilu0_hashILj256ELj64ELj4E21rocsparse_complex_numIdEEEviPKiS4_PT2_S4_PiS4_S7_S7_d21rocsparse_index_base_imNS_24const_host_device_scalarIfEENS9_IdEENS9_IS5_EEb,comdat
	.globl	_ZN9rocsparseL12csrilu0_hashILj256ELj64ELj4E21rocsparse_complex_numIdEEEviPKiS4_PT2_S4_PiS4_S7_S7_d21rocsparse_index_base_imNS_24const_host_device_scalarIfEENS9_IdEENS9_IS5_EEb ; -- Begin function _ZN9rocsparseL12csrilu0_hashILj256ELj64ELj4E21rocsparse_complex_numIdEEEviPKiS4_PT2_S4_PiS4_S7_S7_d21rocsparse_index_base_imNS_24const_host_device_scalarIfEENS9_IdEENS9_IS5_EEb
	.p2align	8
	.type	_ZN9rocsparseL12csrilu0_hashILj256ELj64ELj4E21rocsparse_complex_numIdEEEviPKiS4_PT2_S4_PiS4_S7_S7_d21rocsparse_index_base_imNS_24const_host_device_scalarIfEENS9_IdEENS9_IS5_EEb,@function
_ZN9rocsparseL12csrilu0_hashILj256ELj64ELj4E21rocsparse_complex_numIdEEEviPKiS4_PT2_S4_PiS4_S7_S7_d21rocsparse_index_base_imNS_24const_host_device_scalarIfEENS9_IdEENS9_IS5_EEb: ; @_ZN9rocsparseL12csrilu0_hashILj256ELj64ELj4E21rocsparse_complex_numIdEEEviPKiS4_PT2_S4_PiS4_S7_S7_d21rocsparse_index_base_imNS_24const_host_device_scalarIfEENS9_IdEENS9_IS5_EEb
; %bb.0:
	s_add_u32 flat_scratch_lo, s6, s9
	s_load_dword s6, s[4:5], 0x80
	s_load_dwordx8 s[36:43], s[4:5], 0x58
	s_load_dwordx2 s[12:13], s[4:5], 0x78
	s_load_dwordx2 s[10:11], s[4:5], 0x50
	s_addc_u32 flat_scratch_hi, s7, 0
	s_add_u32 s0, s0, s9
	s_addc_u32 s1, s1, 0
	s_waitcnt lgkmcnt(0)
	s_bitcmp1_b32 s6, 0
	s_cselect_b64 s[14:15], -1, 0
	s_cmp_eq_u32 s11, 0
	s_cselect_b64 s[20:21], -1, 0
	s_cmp_lg_u32 s11, 0
	s_cselect_b64 s[16:17], -1, 0
	s_or_b64 s[22:23], s[20:21], s[14:15]
	s_xor_b64 s[6:7], s[22:23], -1
	v_mov_b32_e32 v1, s43
	s_and_b64 s[18:19], s[20:21], exec
	buffer_store_dword v1, off, s[0:3], 0 offset:4
	v_mov_b32_e32 v1, s42
	s_cselect_b32 s19, 0, s41
	s_cselect_b32 s18, 0, s40
	s_and_b64 vcc, exec, s[22:23]
	buffer_store_dword v1, off, s[0:3], 0
	s_cbranch_vccnz .LBB48_2
; %bb.1:
	s_load_dword s9, s[38:39], 0x0
	s_mov_b64 s[18:19], s[40:41]
	s_waitcnt lgkmcnt(0)
	v_mov_b32_e32 v25, s9
	v_mov_b32_e32 v15, s18
	s_andn2_b64 vcc, exec, s[6:7]
	v_mov_b32_e32 v16, s19
	s_cbranch_vccz .LBB48_3
	s_branch .LBB48_4
.LBB48_2:
	v_mov_b32_e32 v1, s38
	v_cndmask_b32_e64 v25, v1, 0, s[20:21]
	v_mov_b32_e32 v15, s18
	s_andn2_b64 vcc, exec, s[6:7]
	v_mov_b32_e32 v16, s19
	s_cbranch_vccnz .LBB48_4
.LBB48_3:
	v_mov_b32_e32 v1, s40
	v_mov_b32_e32 v2, s41
	flat_load_dwordx2 v[15:16], v[1:2]
.LBB48_4:
	v_cndmask_b32_e64 v1, 0, 1, s[16:17]
	v_mov_b32_e32 v3, 0
	v_cmp_ne_u32_e64 s[6:7], 1, v1
	v_mov_b32_e32 v1, 0
	v_mov_b32_e32 v4, 0
	s_andn2_b64 vcc, exec, s[16:17]
	v_mov_b32_e32 v2, 0
	s_cbranch_vccnz .LBB48_7
; %bb.5:
	s_xor_b64 s[18:19], s[14:15], -1
	s_mov_b64 s[16:17], src_private_base
	s_and_b64 s[14:15], s[14:15], exec
	s_cselect_b32 s9, s17, s43
	s_cselect_b32 s11, 0, s42
	v_mov_b32_e32 v1, s11
	v_mov_b32_e32 v2, s9
	flat_load_dwordx2 v[1:2], v[1:2]
	v_mov_b32_e32 v3, s12
	s_andn2_b64 vcc, exec, s[18:19]
	v_mov_b32_e32 v4, s13
	s_cbranch_vccnz .LBB48_7
; %bb.6:
	v_mov_b32_e32 v3, s42
	v_mov_b32_e32 v4, s43
	flat_load_dwordx2 v[3:4], v[3:4] offset:8
.LBB48_7:
	v_and_b32_e32 v24, 63, v0
	v_lshrrev_b32_e32 v5, 6, v0
	v_lshlrev_b32_e32 v7, 10, v5
	v_lshlrev_b32_e32 v8, 2, v24
	s_movk_i32 s9, 0x1000
	v_or_b32_e32 v6, 0xffffffc0, v24
	v_or3_b32 v7, v7, v8, s9
	s_mov_b64 s[12:13], 0
	v_mov_b32_e32 v8, -1
	s_movk_i32 s9, 0xbf
.LBB48_8:                               ; =>This Inner Loop Header: Depth=1
	v_add_u32_e32 v6, 64, v6
	v_cmp_lt_u32_e32 vcc, s9, v6
	ds_write_b32 v7, v8
	s_or_b64 s[12:13], vcc, s[12:13]
	v_add_u32_e32 v7, 0x100, v7
	s_andn2_b64 exec, exec, s[12:13]
	s_cbranch_execnz .LBB48_8
; %bb.9:
	s_or_b64 exec, exec, s[12:13]
	s_load_dword s9, s[4:5], 0x0
	s_lshl_b32 s8, s8, 2
	s_and_b32 s8, s8, 0x3fffffc
	v_or_b32_e32 v5, s8, v5
	s_waitcnt lgkmcnt(0)
	v_cmp_gt_i32_e32 vcc, s9, v5
	s_and_saveexec_b64 s[8:9], vcc
	s_cbranch_execz .LBB48_87
; %bb.10:
	s_load_dwordx16 s[12:27], s[4:5], 0x8
	v_lshlrev_b32_e32 v5, 2, v5
	v_lshlrev_b32_e32 v0, 4, v0
	v_and_b32_e32 v0, 0xc00, v0
	v_or_b32_e32 v26, 0x1000, v0
	s_waitcnt lgkmcnt(0)
	global_load_dword v17, v5, s[22:23]
	v_mov_b32_e32 v6, s13
	v_mov_b32_e32 v8, s19
	s_waitcnt vmcnt(0)
	v_ashrrev_i32_e32 v18, 31, v17
	v_lshlrev_b64 v[13:14], 2, v[17:18]
	v_add_co_u32_e32 v5, vcc, s12, v13
	v_addc_co_u32_e32 v6, vcc, v6, v14, vcc
	global_load_dwordx2 v[5:6], v[5:6], off
	v_add_co_u32_e32 v7, vcc, s18, v13
	v_addc_co_u32_e32 v8, vcc, v8, v14, vcc
	global_load_dword v18, v[7:8], off
	s_waitcnt vmcnt(1)
	v_subrev_u32_e32 v19, s10, v5
	v_subrev_u32_e32 v7, s10, v6
	v_add_u32_e32 v5, v19, v24
	v_cmp_lt_i32_e32 vcc, v5, v7
	s_and_saveexec_b64 s[8:9], vcc
	s_cbranch_execz .LBB48_33
; %bb.11:
	s_mov_b64 s[22:23], 0
	v_mov_b32_e32 v8, s15
	s_movk_i32 s11, 0x67
	v_mov_b32_e32 v9, -1
	s_branch .LBB48_13
.LBB48_12:                              ;   in Loop: Header=BB48_13 Depth=1
	s_or_b64 exec, exec, s[28:29]
	v_add_u32_e32 v5, 64, v5
	v_cmp_ge_i32_e32 vcc, v5, v7
	s_or_b64 s[22:23], vcc, s[22:23]
	s_andn2_b64 exec, exec, s[22:23]
	s_cbranch_execz .LBB48_33
.LBB48_13:                              ; =>This Loop Header: Depth=1
                                        ;     Child Loop BB48_22 Depth 2
	v_ashrrev_i32_e32 v6, 31, v5
	v_lshlrev_b64 v[10:11], 2, v[5:6]
	s_mov_b64 s[30:31], 0
	v_add_co_u32_e32 v10, vcc, s14, v10
	v_addc_co_u32_e32 v11, vcc, v8, v11, vcc
	global_load_dword v6, v[10:11], off
	v_mov_b32_e32 v10, 0x100
                                        ; implicit-def: $sgpr28_sgpr29
                                        ; implicit-def: $sgpr34_sgpr35
                                        ; implicit-def: $sgpr38_sgpr39
	s_waitcnt vmcnt(0)
	v_mul_lo_u32 v12, v6, s11
	s_branch .LBB48_22
.LBB48_14:                              ;   in Loop: Header=BB48_22 Depth=2
	s_or_b64 exec, exec, s[58:59]
	s_orn2_b64 s[54:55], s[54:55], exec
	s_orn2_b64 s[56:57], s[56:57], exec
.LBB48_15:                              ;   in Loop: Header=BB48_22 Depth=2
	s_or_b64 exec, exec, s[52:53]
	s_and_b64 s[54:55], s[54:55], exec
	s_orn2_b64 s[52:53], s[56:57], exec
.LBB48_16:                              ;   in Loop: Header=BB48_22 Depth=2
	s_or_b64 exec, exec, s[50:51]
	s_orn2_b64 s[54:55], s[54:55], exec
	s_orn2_b64 s[50:51], s[52:53], exec
.LBB48_17:                              ;   in Loop: Header=BB48_22 Depth=2
	s_or_b64 exec, exec, s[48:49]
	s_and_b64 s[52:53], s[54:55], exec
	s_orn2_b64 s[48:49], s[50:51], exec
.LBB48_18:                              ;   in Loop: Header=BB48_22 Depth=2
	s_or_b64 exec, exec, s[46:47]
	s_orn2_b64 s[46:47], s[52:53], exec
	s_orn2_b64 s[48:49], s[48:49], exec
.LBB48_19:                              ;   in Loop: Header=BB48_22 Depth=2
	s_or_b64 exec, exec, s[44:45]
	s_and_b64 s[46:47], s[46:47], exec
	s_orn2_b64 s[44:45], s[48:49], exec
.LBB48_20:                              ;   in Loop: Header=BB48_22 Depth=2
	s_or_b64 exec, exec, s[42:43]
	s_andn2_b64 s[38:39], s[38:39], exec
	s_and_b64 s[42:43], s[46:47], exec
	s_or_b64 s[38:39], s[38:39], s[42:43]
	s_andn2_b64 s[34:35], s[34:35], exec
	s_and_b64 s[42:43], s[44:45], exec
	s_or_b64 s[34:35], s[34:35], s[42:43]
.LBB48_21:                              ;   in Loop: Header=BB48_22 Depth=2
	s_or_b64 exec, exec, s[40:41]
	s_and_b64 s[40:41], exec, s[34:35]
	s_or_b64 s[30:31], s[40:41], s[30:31]
	s_andn2_b64 s[28:29], s[28:29], exec
	s_and_b64 s[40:41], s[38:39], exec
	s_or_b64 s[28:29], s[28:29], s[40:41]
	s_andn2_b64 exec, exec, s[30:31]
	s_cbranch_execz .LBB48_31
.LBB48_22:                              ;   Parent Loop BB48_13 Depth=1
                                        ; =>  This Inner Loop Header: Depth=2
	v_and_b32_e32 v11, 0xff, v12
	v_lshl_add_u32 v20, v11, 2, v26
	ds_read_b32 v21, v20
	s_or_b64 s[38:39], s[38:39], exec
	s_or_b64 s[34:35], s[34:35], exec
	s_waitcnt lgkmcnt(0)
	v_cmp_ne_u32_e32 vcc, v21, v6
	s_and_saveexec_b64 s[40:41], vcc
	s_cbranch_execz .LBB48_21
; %bb.23:                               ;   in Loop: Header=BB48_22 Depth=2
	ds_cmpst_rtn_b32 v20, v20, v9, v6
	s_mov_b64 s[44:45], -1
	s_mov_b64 s[46:47], 0
	s_waitcnt lgkmcnt(0)
	v_cmp_ne_u32_e32 vcc, -1, v20
	s_and_saveexec_b64 s[42:43], vcc
	s_cbranch_execz .LBB48_20
; %bb.24:                               ;   in Loop: Header=BB48_22 Depth=2
	v_add_u32_e32 v11, 1, v12
	v_and_b32_e32 v11, 0xff, v11
	v_lshl_add_u32 v20, v11, 2, v26
	ds_read_b32 v21, v20
	s_mov_b64 s[48:49], -1
	s_mov_b64 s[46:47], -1
	s_waitcnt lgkmcnt(0)
	v_cmp_ne_u32_e32 vcc, v21, v6
	s_and_saveexec_b64 s[44:45], vcc
	s_cbranch_execz .LBB48_19
; %bb.25:                               ;   in Loop: Header=BB48_22 Depth=2
	ds_cmpst_rtn_b32 v20, v20, v9, v6
	s_mov_b64 s[52:53], 0
	s_waitcnt lgkmcnt(0)
	v_cmp_ne_u32_e32 vcc, -1, v20
	s_and_saveexec_b64 s[46:47], vcc
	s_cbranch_execz .LBB48_18
; %bb.26:                               ;   in Loop: Header=BB48_22 Depth=2
	v_add_u32_e32 v11, 2, v12
	v_and_b32_e32 v11, 0xff, v11
	v_lshl_add_u32 v20, v11, 2, v26
	ds_read_b32 v21, v20
	s_mov_b64 s[50:51], -1
	s_mov_b64 s[54:55], -1
	s_waitcnt lgkmcnt(0)
	v_cmp_ne_u32_e32 vcc, v21, v6
	s_and_saveexec_b64 s[48:49], vcc
	s_cbranch_execz .LBB48_17
; %bb.27:                               ;   in Loop: Header=BB48_22 Depth=2
	ds_cmpst_rtn_b32 v20, v20, v9, v6
	s_mov_b64 s[52:53], -1
	s_mov_b64 s[54:55], 0
	s_waitcnt lgkmcnt(0)
	v_cmp_ne_u32_e32 vcc, -1, v20
	s_and_saveexec_b64 s[50:51], vcc
	s_cbranch_execz .LBB48_16
; %bb.28:                               ;   in Loop: Header=BB48_22 Depth=2
	v_add_u32_e32 v11, 3, v12
	v_and_b32_e32 v11, 0xff, v11
	v_lshl_add_u32 v20, v11, 2, v26
	ds_read_b32 v12, v20
	s_mov_b64 s[56:57], -1
	s_mov_b64 s[54:55], -1
	s_waitcnt lgkmcnt(0)
	v_cmp_ne_u32_e32 vcc, v12, v6
                                        ; implicit-def: $vgpr12
	s_and_saveexec_b64 s[52:53], vcc
	s_cbranch_execz .LBB48_15
; %bb.29:                               ;   in Loop: Header=BB48_22 Depth=2
	ds_cmpst_rtn_b32 v12, v20, v9, v6
	s_mov_b64 s[54:55], 0
	s_waitcnt lgkmcnt(0)
	v_cmp_ne_u32_e32 vcc, -1, v12
                                        ; implicit-def: $vgpr12
	s_and_saveexec_b64 s[58:59], vcc
	s_cbranch_execz .LBB48_14
; %bb.30:                               ;   in Loop: Header=BB48_22 Depth=2
	v_add_u32_e32 v10, -4, v10
	v_cmp_eq_u32_e32 vcc, 0, v10
	s_mov_b64 s[54:55], exec
	v_add_u32_e32 v12, 1, v11
	s_orn2_b64 s[56:57], vcc, exec
	s_branch .LBB48_14
.LBB48_31:                              ;   in Loop: Header=BB48_13 Depth=1
	s_or_b64 exec, exec, s[30:31]
	s_xor_b64 s[28:29], s[28:29], -1
	s_and_saveexec_b64 s[30:31], s[28:29]
	s_xor_b64 s[28:29], exec, s[30:31]
	s_cbranch_execz .LBB48_12
; %bb.32:                               ;   in Loop: Header=BB48_13 Depth=1
	v_lshl_add_u32 v6, v11, 2, v0
	ds_write_b32 v6, v5
	s_branch .LBB48_12
.LBB48_33:
	s_or_b64 exec, exec, s[8:9]
	s_waitcnt vmcnt(0)
	v_cmp_lt_i32_e32 vcc, v19, v18
	s_waitcnt lgkmcnt(0)
	s_and_saveexec_b64 s[22:23], vcc
	s_cbranch_execz .LBB48_63
; %bb.34:
	v_add_u32_e32 v27, 1, v24
	s_mov_b64 s[28:29], 0
	v_mov_b32_e32 v28, s15
	v_mov_b32_e32 v29, s17
	;; [unrolled: 1-line block ×5, first 2 shown]
	s_movk_i32 s11, 0x67
	s_branch .LBB48_37
.LBB48_35:                              ;   in Loop: Header=BB48_37 Depth=1
	s_or_b64 exec, exec, s[30:31]
	v_add_u32_e32 v19, 1, v19
	v_cmp_ge_i32_e32 vcc, v19, v18
	s_orn2_b64 s[30:31], vcc, exec
.LBB48_36:                              ;   in Loop: Header=BB48_37 Depth=1
	s_or_b64 exec, exec, s[8:9]
	s_and_b64 s[8:9], exec, s[30:31]
	s_or_b64 s[28:29], s[8:9], s[28:29]
	s_andn2_b64 exec, exec, s[28:29]
	s_cbranch_execz .LBB48_63
.LBB48_37:                              ; =>This Loop Header: Depth=1
                                        ;     Child Loop BB48_38 Depth 2
                                        ;     Child Loop BB48_43 Depth 2
                                        ;       Child Loop BB48_52 Depth 3
	v_ashrrev_i32_e32 v20, 31, v19
	v_lshlrev_b64 v[5:6], 2, v[19:20]
	s_mov_b64 s[8:9], 0
	v_add_co_u32_e32 v5, vcc, s14, v5
	v_addc_co_u32_e32 v6, vcc, v28, v6, vcc
	global_load_dword v9, v[5:6], off
	v_lshlrev_b64 v[5:6], 4, v[19:20]
	v_add_co_u32_e32 v20, vcc, s16, v5
	v_addc_co_u32_e32 v21, vcc, v29, v6, vcc
	global_load_dwordx4 v[5:8], v[20:21], off
	s_waitcnt vmcnt(1)
	v_subrev_u32_e32 v9, s10, v9
	v_ashrrev_i32_e32 v10, 31, v9
	v_lshlrev_b64 v[9:10], 2, v[9:10]
	v_add_co_u32_e32 v22, vcc, s12, v9
	v_addc_co_u32_e32 v23, vcc, v30, v10, vcc
	v_add_co_u32_e32 v33, vcc, s18, v9
	v_addc_co_u32_e32 v34, vcc, v31, v10, vcc
	global_load_dword v11, v[22:23], off offset:4
	global_load_dword v12, v[33:34], off
	v_add_co_u32_e32 v9, vcc, s20, v9
	v_addc_co_u32_e32 v10, vcc, v32, v10, vcc
.LBB48_38:                              ;   Parent Loop BB48_37 Depth=1
                                        ; =>  This Inner Loop Header: Depth=2
	global_load_dword v22, v[9:10], off glc
	s_waitcnt vmcnt(0)
	v_cmp_ne_u32_e32 vcc, 0, v22
	s_or_b64 s[8:9], vcc, s[8:9]
	s_andn2_b64 exec, exec, s[8:9]
	s_cbranch_execnz .LBB48_38
; %bb.39:                               ;   in Loop: Header=BB48_37 Depth=1
	s_or_b64 exec, exec, s[8:9]
	v_subrev_u32_e32 v33, s10, v11
	v_add_u32_e32 v9, -1, v33
	v_cmp_eq_u32_e32 vcc, -1, v12
	v_cndmask_b32_e32 v22, v12, v9, vcc
	v_ashrrev_i32_e32 v23, 31, v22
	v_lshlrev_b64 v[9:10], 4, v[22:23]
	buffer_wbinvl1_vol
	v_add_co_u32_e32 v9, vcc, s16, v9
	v_addc_co_u32_e32 v10, vcc, v29, v10, vcc
	global_load_dwordx4 v[9:12], v[9:10], off
	s_mov_b64 s[30:31], -1
	s_waitcnt vmcnt(0)
	v_cmp_neq_f64_e32 vcc, 0, v[9:10]
	v_cmp_neq_f64_e64 s[8:9], 0, v[11:12]
	s_or_b64 s[34:35], vcc, s[8:9]
	s_and_saveexec_b64 s[8:9], s[34:35]
	s_cbranch_execz .LBB48_36
; %bb.40:                               ;   in Loop: Header=BB48_37 Depth=1
	v_mul_f64 v[34:35], v[11:12], v[11:12]
	v_fma_f64 v[34:35], v[9:10], v[9:10], v[34:35]
	v_div_scale_f64 v[36:37], s[30:31], v[34:35], v[34:35], 1.0
	v_rcp_f64_e32 v[38:39], v[36:37]
	v_fma_f64 v[40:41], -v[36:37], v[38:39], 1.0
	v_fma_f64 v[38:39], v[38:39], v[40:41], v[38:39]
	v_div_scale_f64 v[40:41], vcc, 1.0, v[34:35], 1.0
	v_fma_f64 v[42:43], -v[36:37], v[38:39], 1.0
	v_fma_f64 v[38:39], v[38:39], v[42:43], v[38:39]
	v_mul_f64 v[42:43], v[40:41], v[38:39]
	v_fma_f64 v[36:37], -v[36:37], v[42:43], v[40:41]
	v_div_fmas_f64 v[36:37], v[36:37], v[38:39], v[42:43]
	v_mul_f64 v[38:39], v[7:8], v[11:12]
	v_mul_f64 v[11:12], v[11:12], -v[5:6]
	v_fma_f64 v[5:6], v[5:6], v[9:10], v[38:39]
	v_fma_f64 v[7:8], v[7:8], v[9:10], v[11:12]
	v_add_u32_e32 v9, v27, v22
	v_cmp_lt_i32_e32 vcc, v9, v33
	v_div_fixup_f64 v[34:35], v[36:37], v[34:35], 1.0
	v_mul_f64 v[5:6], v[5:6], v[34:35]
	v_mul_f64 v[7:8], v[7:8], v[34:35]
	global_store_dwordx4 v[20:21], v[5:8], off
	s_and_saveexec_b64 s[30:31], vcc
	s_cbranch_execz .LBB48_35
; %bb.41:                               ;   in Loop: Header=BB48_37 Depth=1
	s_mov_b64 s[34:35], 0
	s_branch .LBB48_43
.LBB48_42:                              ;   in Loop: Header=BB48_43 Depth=2
	s_or_b64 exec, exec, s[38:39]
	v_add_u32_e32 v9, 64, v9
	v_cmp_ge_i32_e32 vcc, v9, v33
	s_or_b64 s[34:35], vcc, s[34:35]
	s_andn2_b64 exec, exec, s[34:35]
	s_cbranch_execz .LBB48_35
.LBB48_43:                              ;   Parent Loop BB48_37 Depth=1
                                        ; =>  This Loop Header: Depth=2
                                        ;       Child Loop BB48_52 Depth 3
	v_ashrrev_i32_e32 v10, 31, v9
	v_lshlrev_b64 v[11:12], 2, v[9:10]
	s_mov_b64 s[40:41], 0
	v_add_co_u32_e32 v11, vcc, s14, v11
	v_addc_co_u32_e32 v12, vcc, v28, v12, vcc
	global_load_dword v11, v[11:12], off
	v_mov_b32_e32 v12, 0x100
                                        ; implicit-def: $sgpr38_sgpr39
                                        ; implicit-def: $sgpr42_sgpr43
                                        ; implicit-def: $sgpr44_sgpr45
	s_waitcnt vmcnt(0)
	v_mul_lo_u32 v21, v11, s11
	s_branch .LBB48_52
.LBB48_44:                              ;   in Loop: Header=BB48_52 Depth=3
	s_or_b64 exec, exec, s[64:65]
	s_orn2_b64 s[60:61], s[60:61], exec
	s_orn2_b64 s[62:63], s[62:63], exec
.LBB48_45:                              ;   in Loop: Header=BB48_52 Depth=3
	s_or_b64 exec, exec, s[58:59]
	s_and_b64 s[60:61], s[60:61], exec
	s_orn2_b64 s[58:59], s[62:63], exec
.LBB48_46:                              ;   in Loop: Header=BB48_52 Depth=3
	s_or_b64 exec, exec, s[56:57]
	s_orn2_b64 s[60:61], s[60:61], exec
	s_orn2_b64 s[56:57], s[58:59], exec
.LBB48_47:                              ;   in Loop: Header=BB48_52 Depth=3
	s_or_b64 exec, exec, s[54:55]
	s_and_b64 s[58:59], s[60:61], exec
	s_orn2_b64 s[54:55], s[56:57], exec
.LBB48_48:                              ;   in Loop: Header=BB48_52 Depth=3
	s_or_b64 exec, exec, s[52:53]
	s_orn2_b64 s[52:53], s[58:59], exec
	s_orn2_b64 s[54:55], s[54:55], exec
.LBB48_49:                              ;   in Loop: Header=BB48_52 Depth=3
	s_or_b64 exec, exec, s[50:51]
	s_and_b64 s[52:53], s[52:53], exec
	s_orn2_b64 s[50:51], s[54:55], exec
.LBB48_50:                              ;   in Loop: Header=BB48_52 Depth=3
	s_or_b64 exec, exec, s[48:49]
	s_andn2_b64 s[44:45], s[44:45], exec
	s_and_b64 s[48:49], s[52:53], exec
	s_or_b64 s[44:45], s[44:45], s[48:49]
	s_andn2_b64 s[42:43], s[42:43], exec
	s_and_b64 s[48:49], s[50:51], exec
	s_or_b64 s[42:43], s[42:43], s[48:49]
.LBB48_51:                              ;   in Loop: Header=BB48_52 Depth=3
	s_or_b64 exec, exec, s[46:47]
	s_and_b64 s[46:47], exec, s[42:43]
	s_or_b64 s[40:41], s[46:47], s[40:41]
	s_andn2_b64 s[38:39], s[38:39], exec
	s_and_b64 s[46:47], s[44:45], exec
	s_or_b64 s[38:39], s[38:39], s[46:47]
	s_andn2_b64 exec, exec, s[40:41]
	s_cbranch_execz .LBB48_61
.LBB48_52:                              ;   Parent Loop BB48_37 Depth=1
                                        ;     Parent Loop BB48_43 Depth=2
                                        ; =>    This Inner Loop Header: Depth=3
	v_and_b32_e32 v20, 0xff, v21
	v_lshl_add_u32 v22, v20, 2, v26
	ds_read_b32 v22, v22
	s_or_b64 s[44:45], s[44:45], exec
	s_or_b64 s[42:43], s[42:43], exec
	s_waitcnt lgkmcnt(0)
	v_cmp_ne_u32_e32 vcc, -1, v22
	s_and_saveexec_b64 s[46:47], vcc
	s_cbranch_execz .LBB48_51
; %bb.53:                               ;   in Loop: Header=BB48_52 Depth=3
	v_cmp_ne_u32_e32 vcc, v22, v11
	s_mov_b64 s[50:51], -1
	s_mov_b64 s[52:53], 0
	s_and_saveexec_b64 s[48:49], vcc
	s_cbranch_execz .LBB48_50
; %bb.54:                               ;   in Loop: Header=BB48_52 Depth=3
	v_add_u32_e32 v20, 1, v21
	v_and_b32_e32 v20, 0xff, v20
	v_lshl_add_u32 v22, v20, 2, v26
	ds_read_b32 v22, v22
	s_mov_b64 s[54:55], -1
	s_mov_b64 s[52:53], -1
	s_waitcnt lgkmcnt(0)
	v_cmp_ne_u32_e32 vcc, -1, v22
	s_and_saveexec_b64 s[50:51], vcc
	s_cbranch_execz .LBB48_49
; %bb.55:                               ;   in Loop: Header=BB48_52 Depth=3
	v_cmp_ne_u32_e32 vcc, v22, v11
	s_mov_b64 s[58:59], 0
	s_and_saveexec_b64 s[52:53], vcc
	s_cbranch_execz .LBB48_48
; %bb.56:                               ;   in Loop: Header=BB48_52 Depth=3
	v_add_u32_e32 v20, 2, v21
	v_and_b32_e32 v20, 0xff, v20
	v_lshl_add_u32 v22, v20, 2, v26
	ds_read_b32 v22, v22
	s_mov_b64 s[56:57], -1
	s_mov_b64 s[60:61], -1
	s_waitcnt lgkmcnt(0)
	v_cmp_ne_u32_e32 vcc, -1, v22
	s_and_saveexec_b64 s[54:55], vcc
	s_cbranch_execz .LBB48_47
; %bb.57:                               ;   in Loop: Header=BB48_52 Depth=3
	v_cmp_ne_u32_e32 vcc, v22, v11
	s_mov_b64 s[58:59], -1
	s_mov_b64 s[60:61], 0
	s_and_saveexec_b64 s[56:57], vcc
	s_cbranch_execz .LBB48_46
; %bb.58:                               ;   in Loop: Header=BB48_52 Depth=3
	v_add_u32_e32 v20, 3, v21
	v_and_b32_e32 v20, 0xff, v20
	v_lshl_add_u32 v21, v20, 2, v26
	ds_read_b32 v22, v21
	s_mov_b64 s[62:63], -1
	s_mov_b64 s[60:61], -1
                                        ; implicit-def: $vgpr21
	s_waitcnt lgkmcnt(0)
	v_cmp_ne_u32_e32 vcc, -1, v22
	s_and_saveexec_b64 s[58:59], vcc
	s_cbranch_execz .LBB48_45
; %bb.59:                               ;   in Loop: Header=BB48_52 Depth=3
	v_cmp_ne_u32_e32 vcc, v22, v11
	s_mov_b64 s[60:61], 0
                                        ; implicit-def: $vgpr21
	s_and_saveexec_b64 s[64:65], vcc
	s_cbranch_execz .LBB48_44
; %bb.60:                               ;   in Loop: Header=BB48_52 Depth=3
	v_add_u32_e32 v12, -4, v12
	v_cmp_eq_u32_e32 vcc, 0, v12
	s_mov_b64 s[60:61], exec
	v_add_u32_e32 v21, 1, v20
	s_orn2_b64 s[62:63], vcc, exec
	s_branch .LBB48_44
.LBB48_61:                              ;   in Loop: Header=BB48_43 Depth=2
	s_or_b64 exec, exec, s[40:41]
	s_xor_b64 s[38:39], s[38:39], -1
	s_and_saveexec_b64 s[40:41], s[38:39]
	s_xor_b64 s[38:39], exec, s[40:41]
	s_cbranch_execz .LBB48_42
; %bb.62:                               ;   in Loop: Header=BB48_43 Depth=2
	v_lshl_add_u32 v11, v20, 2, v0
	ds_read_b32 v11, v11
	v_lshlrev_b64 v[20:21], 4, v[9:10]
	v_add_co_u32_e32 v38, vcc, s16, v20
	s_waitcnt lgkmcnt(0)
	v_ashrrev_i32_e32 v12, 31, v11
	v_lshlrev_b64 v[10:11], 4, v[11:12]
	v_addc_co_u32_e32 v39, vcc, v29, v21, vcc
	v_add_co_u32_e32 v10, vcc, s16, v10
	v_addc_co_u32_e32 v11, vcc, v29, v11, vcc
	global_load_dwordx4 v[20:23], v[38:39], off
	global_load_dwordx4 v[34:37], v[10:11], off
	s_waitcnt vmcnt(0)
	v_fma_f64 v[34:35], -v[5:6], v[20:21], v[34:35]
	v_fma_f64 v[36:37], -v[7:8], v[20:21], v[36:37]
	v_fma_f64 v[20:21], v[7:8], v[22:23], v[34:35]
	v_fma_f64 v[22:23], -v[5:6], v[22:23], v[36:37]
	global_store_dwordx4 v[10:11], v[20:23], off
	s_branch .LBB48_42
.LBB48_63:
	s_or_b64 exec, exec, s[22:23]
	v_cmp_lt_i32_e32 vcc, -1, v18
	s_and_saveexec_b64 s[12:13], vcc
	s_cbranch_execz .LBB48_85
; %bb.64:
	v_mov_b32_e32 v19, 0
	v_lshlrev_b64 v[5:6], 4, v[18:19]
	v_mov_b32_e32 v0, s17
	v_add_co_u32_e32 v9, vcc, s16, v5
	v_addc_co_u32_e32 v10, vcc, v0, v6, vcc
	global_load_dwordx4 v[5:8], v[9:10], off
                                        ; implicit-def: $vgpr20_vgpr21
	s_waitcnt vmcnt(0)
	v_cmp_gt_f64_e32 vcc, 0, v[5:6]
	v_xor_b32_e32 v0, 0x80000000, v6
	v_xor_b32_e32 v18, 0x80000000, v8
	v_mov_b32_e32 v11, v5
	v_cndmask_b32_e32 v12, v6, v0, vcc
	v_cmp_gt_f64_e32 vcc, 0, v[7:8]
	v_cndmask_b32_e32 v19, v8, v18, vcc
	v_mov_b32_e32 v18, v7
	v_cmp_ngt_f64_e32 vcc, v[11:12], v[18:19]
	s_and_saveexec_b64 s[8:9], vcc
	s_xor_b64 s[8:9], exec, s[8:9]
	s_cbranch_execz .LBB48_68
; %bb.65:
	v_cmp_neq_f64_e32 vcc, 0, v[7:8]
	v_mov_b32_e32 v20, 0
	v_mov_b32_e32 v21, 0
	s_and_saveexec_b64 s[14:15], vcc
	s_cbranch_execz .LBB48_67
; %bb.66:
	v_div_scale_f64 v[20:21], s[16:17], v[18:19], v[18:19], v[11:12]
	s_mov_b32 s16, 0
	s_brev_b32 s17, 8
	v_mov_b32_e32 v0, 0x100
	v_rcp_f64_e32 v[22:23], v[20:21]
	v_fma_f64 v[26:27], -v[20:21], v[22:23], 1.0
	v_fma_f64 v[22:23], v[22:23], v[26:27], v[22:23]
	v_div_scale_f64 v[26:27], vcc, v[11:12], v[18:19], v[11:12]
	v_fma_f64 v[28:29], -v[20:21], v[22:23], 1.0
	v_fma_f64 v[22:23], v[22:23], v[28:29], v[22:23]
	v_mul_f64 v[28:29], v[26:27], v[22:23]
	v_fma_f64 v[20:21], -v[20:21], v[28:29], v[26:27]
	v_div_fmas_f64 v[20:21], v[20:21], v[22:23], v[28:29]
	v_div_fixup_f64 v[11:12], v[20:21], v[18:19], v[11:12]
	v_fma_f64 v[11:12], v[11:12], v[11:12], 1.0
	v_cmp_gt_f64_e32 vcc, s[16:17], v[11:12]
	v_cndmask_b32_e32 v0, 0, v0, vcc
	v_ldexp_f64 v[11:12], v[11:12], v0
	v_mov_b32_e32 v0, 0xffffff80
	v_cndmask_b32_e32 v0, 0, v0, vcc
	v_rsq_f64_e32 v[20:21], v[11:12]
	v_mul_f64 v[22:23], v[11:12], v[20:21]
	v_mul_f64 v[20:21], v[20:21], 0.5
	v_fma_f64 v[26:27], -v[20:21], v[22:23], 0.5
	v_fma_f64 v[22:23], v[22:23], v[26:27], v[22:23]
	v_fma_f64 v[20:21], v[20:21], v[26:27], v[20:21]
	v_fma_f64 v[26:27], -v[22:23], v[22:23], v[11:12]
	v_fma_f64 v[22:23], v[26:27], v[20:21], v[22:23]
	v_fma_f64 v[26:27], -v[22:23], v[22:23], v[11:12]
	v_fma_f64 v[20:21], v[26:27], v[20:21], v[22:23]
	v_mov_b32_e32 v22, 0x260
	v_cmp_class_f64_e32 vcc, v[11:12], v22
	v_ldexp_f64 v[20:21], v[20:21], v0
	v_cndmask_b32_e32 v12, v21, v12, vcc
	v_cndmask_b32_e32 v11, v20, v11, vcc
	v_mul_f64 v[20:21], v[18:19], v[11:12]
.LBB48_67:
	s_or_b64 exec, exec, s[14:15]
                                        ; implicit-def: $vgpr11_vgpr12
                                        ; implicit-def: $vgpr18_vgpr19
.LBB48_68:
	s_andn2_saveexec_b64 s[8:9], s[8:9]
	s_cbranch_execz .LBB48_70
; %bb.69:
	v_div_scale_f64 v[20:21], s[14:15], v[11:12], v[11:12], v[18:19]
	s_mov_b32 s14, 0
	s_brev_b32 s15, 8
	v_mov_b32_e32 v0, 0x100
	v_rcp_f64_e32 v[22:23], v[20:21]
	v_fma_f64 v[26:27], -v[20:21], v[22:23], 1.0
	v_fma_f64 v[22:23], v[22:23], v[26:27], v[22:23]
	v_div_scale_f64 v[26:27], vcc, v[18:19], v[11:12], v[18:19]
	v_fma_f64 v[28:29], -v[20:21], v[22:23], 1.0
	v_fma_f64 v[22:23], v[22:23], v[28:29], v[22:23]
	v_mul_f64 v[28:29], v[26:27], v[22:23]
	v_fma_f64 v[20:21], -v[20:21], v[28:29], v[26:27]
	v_div_fmas_f64 v[20:21], v[20:21], v[22:23], v[28:29]
	v_div_fixup_f64 v[18:19], v[20:21], v[11:12], v[18:19]
	v_fma_f64 v[18:19], v[18:19], v[18:19], 1.0
	v_cmp_gt_f64_e32 vcc, s[14:15], v[18:19]
	v_cndmask_b32_e32 v0, 0, v0, vcc
	v_ldexp_f64 v[18:19], v[18:19], v0
	v_mov_b32_e32 v0, 0xffffff80
	v_cndmask_b32_e32 v0, 0, v0, vcc
	v_rsq_f64_e32 v[20:21], v[18:19]
	v_mul_f64 v[22:23], v[18:19], v[20:21]
	v_mul_f64 v[20:21], v[20:21], 0.5
	v_fma_f64 v[26:27], -v[20:21], v[22:23], 0.5
	v_fma_f64 v[22:23], v[22:23], v[26:27], v[22:23]
	v_fma_f64 v[20:21], v[20:21], v[26:27], v[20:21]
	v_fma_f64 v[26:27], -v[22:23], v[22:23], v[18:19]
	v_fma_f64 v[22:23], v[26:27], v[20:21], v[22:23]
	v_fma_f64 v[26:27], -v[22:23], v[22:23], v[18:19]
	v_fma_f64 v[20:21], v[26:27], v[20:21], v[22:23]
	v_mov_b32_e32 v22, 0x260
	v_cmp_class_f64_e32 vcc, v[18:19], v22
	v_ldexp_f64 v[20:21], v[20:21], v0
	v_cndmask_b32_e32 v19, v21, v19, vcc
	v_cndmask_b32_e32 v18, v20, v18, vcc
	v_mul_f64 v[20:21], v[11:12], v[18:19]
.LBB48_70:
	s_or_b64 exec, exec, s[8:9]
	v_cmp_eq_u32_e64 s[8:9], 0, v24
	s_and_b64 vcc, exec, s[6:7]
	s_mov_b64 s[6:7], -1
	s_cbranch_vccnz .LBB48_74
; %bb.71:
	v_cvt_f64_f32_e32 v[11:12], v25
	s_cmp_eq_u64 s[36:37], 8
	s_cselect_b64 vcc, -1, 0
	v_cndmask_b32_e32 v12, v12, v16, vcc
	v_cndmask_b32_e32 v11, v11, v15, vcc
	v_cmp_le_f64_e32 vcc, v[20:21], v[11:12]
	s_and_b64 s[14:15], s[8:9], vcc
	s_and_saveexec_b64 s[6:7], s[14:15]
	s_cbranch_execz .LBB48_73
; %bb.72:
	global_store_dwordx4 v[9:10], v[1:4], off
	s_waitcnt vmcnt(0)
	buffer_wbinvl1_vol
.LBB48_73:
	s_or_b64 exec, exec, s[6:7]
	s_mov_b64 s[6:7], 0
.LBB48_74:
	s_andn2_b64 vcc, exec, s[6:7]
	s_cbranch_vccnz .LBB48_85
; %bb.75:
	s_load_dwordx2 s[4:5], s[4:5], 0x48
	v_add_u32_e32 v0, s10, v17
	s_waitcnt lgkmcnt(0)
	v_cmp_ge_f64_e32 vcc, s[4:5], v[20:21]
	s_and_b64 s[6:7], s[8:9], vcc
	s_and_saveexec_b64 s[4:5], s[6:7]
	s_cbranch_execz .LBB48_80
; %bb.76:
	s_mov_b64 s[6:7], exec
	s_brev_b32 s10, -2
.LBB48_77:                              ; =>This Inner Loop Header: Depth=1
	s_ff1_i32_b64 s11, s[6:7]
	v_readlane_b32 s16, v0, s11
	s_lshl_b64 s[14:15], 1, s11
	s_min_i32 s10, s10, s16
	s_andn2_b64 s[6:7], s[6:7], s[14:15]
	s_cmp_lg_u64 s[6:7], 0
	s_cbranch_scc1 .LBB48_77
; %bb.78:
	v_mbcnt_lo_u32_b32 v1, exec_lo, 0
	v_mbcnt_hi_u32_b32 v1, exec_hi, v1
	v_cmp_eq_u32_e32 vcc, 0, v1
	s_and_saveexec_b64 s[6:7], vcc
	s_xor_b64 s[6:7], exec, s[6:7]
	s_cbranch_execz .LBB48_80
; %bb.79:
	v_mov_b32_e32 v1, 0
	v_mov_b32_e32 v2, s10
	global_atomic_smin v1, v2, s[26:27]
.LBB48_80:
	s_or_b64 exec, exec, s[4:5]
	v_cmp_eq_f64_e32 vcc, 0, v[5:6]
	v_cmp_eq_f64_e64 s[4:5], 0, v[7:8]
	s_and_b64 s[4:5], vcc, s[4:5]
	s_and_b64 s[4:5], s[8:9], s[4:5]
	s_and_b64 exec, exec, s[4:5]
	s_cbranch_execz .LBB48_85
; %bb.81:
	s_mov_b64 s[4:5], exec
	s_brev_b32 s6, -2
.LBB48_82:                              ; =>This Inner Loop Header: Depth=1
	s_ff1_i32_b64 s7, s[4:5]
	v_readlane_b32 s10, v0, s7
	s_lshl_b64 s[8:9], 1, s7
	s_min_i32 s6, s6, s10
	s_andn2_b64 s[4:5], s[4:5], s[8:9]
	s_cmp_lg_u64 s[4:5], 0
	s_cbranch_scc1 .LBB48_82
; %bb.83:
	v_mbcnt_lo_u32_b32 v0, exec_lo, 0
	v_mbcnt_hi_u32_b32 v0, exec_hi, v0
	v_cmp_eq_u32_e32 vcc, 0, v0
	s_and_saveexec_b64 s[4:5], vcc
	s_xor_b64 s[4:5], exec, s[4:5]
	s_cbranch_execz .LBB48_85
; %bb.84:
	v_mov_b32_e32 v0, 0
	v_mov_b32_e32 v1, s6
	global_atomic_smin v0, v1, s[24:25]
.LBB48_85:
	s_or_b64 exec, exec, s[12:13]
	v_cmp_eq_u32_e32 vcc, 0, v24
	s_waitcnt vmcnt(0)
	buffer_wbinvl1_vol
	s_and_b64 exec, exec, vcc
	s_cbranch_execz .LBB48_87
; %bb.86:
	v_mov_b32_e32 v1, s21
	v_add_co_u32_e32 v0, vcc, s20, v13
	v_addc_co_u32_e32 v1, vcc, v1, v14, vcc
	v_mov_b32_e32 v2, 1
	global_store_dword v[0:1], v2, off
.LBB48_87:
	s_endpgm
	.section	.rodata,"a",@progbits
	.p2align	6, 0x0
	.amdhsa_kernel _ZN9rocsparseL12csrilu0_hashILj256ELj64ELj4E21rocsparse_complex_numIdEEEviPKiS4_PT2_S4_PiS4_S7_S7_d21rocsparse_index_base_imNS_24const_host_device_scalarIfEENS9_IdEENS9_IS5_EEb
		.amdhsa_group_segment_fixed_size 8192
		.amdhsa_private_segment_fixed_size 16
		.amdhsa_kernarg_size 132
		.amdhsa_user_sgpr_count 8
		.amdhsa_user_sgpr_private_segment_buffer 1
		.amdhsa_user_sgpr_dispatch_ptr 0
		.amdhsa_user_sgpr_queue_ptr 0
		.amdhsa_user_sgpr_kernarg_segment_ptr 1
		.amdhsa_user_sgpr_dispatch_id 0
		.amdhsa_user_sgpr_flat_scratch_init 1
		.amdhsa_user_sgpr_private_segment_size 0
		.amdhsa_uses_dynamic_stack 0
		.amdhsa_system_sgpr_private_segment_wavefront_offset 1
		.amdhsa_system_sgpr_workgroup_id_x 1
		.amdhsa_system_sgpr_workgroup_id_y 0
		.amdhsa_system_sgpr_workgroup_id_z 0
		.amdhsa_system_sgpr_workgroup_info 0
		.amdhsa_system_vgpr_workitem_id 0
		.amdhsa_next_free_vgpr 44
		.amdhsa_next_free_sgpr 66
		.amdhsa_reserve_vcc 1
		.amdhsa_reserve_flat_scratch 1
		.amdhsa_float_round_mode_32 0
		.amdhsa_float_round_mode_16_64 0
		.amdhsa_float_denorm_mode_32 3
		.amdhsa_float_denorm_mode_16_64 3
		.amdhsa_dx10_clamp 1
		.amdhsa_ieee_mode 1
		.amdhsa_fp16_overflow 0
		.amdhsa_exception_fp_ieee_invalid_op 0
		.amdhsa_exception_fp_denorm_src 0
		.amdhsa_exception_fp_ieee_div_zero 0
		.amdhsa_exception_fp_ieee_overflow 0
		.amdhsa_exception_fp_ieee_underflow 0
		.amdhsa_exception_fp_ieee_inexact 0
		.amdhsa_exception_int_div_zero 0
	.end_amdhsa_kernel
	.section	.text._ZN9rocsparseL12csrilu0_hashILj256ELj64ELj4E21rocsparse_complex_numIdEEEviPKiS4_PT2_S4_PiS4_S7_S7_d21rocsparse_index_base_imNS_24const_host_device_scalarIfEENS9_IdEENS9_IS5_EEb,"axG",@progbits,_ZN9rocsparseL12csrilu0_hashILj256ELj64ELj4E21rocsparse_complex_numIdEEEviPKiS4_PT2_S4_PiS4_S7_S7_d21rocsparse_index_base_imNS_24const_host_device_scalarIfEENS9_IdEENS9_IS5_EEb,comdat
.Lfunc_end48:
	.size	_ZN9rocsparseL12csrilu0_hashILj256ELj64ELj4E21rocsparse_complex_numIdEEEviPKiS4_PT2_S4_PiS4_S7_S7_d21rocsparse_index_base_imNS_24const_host_device_scalarIfEENS9_IdEENS9_IS5_EEb, .Lfunc_end48-_ZN9rocsparseL12csrilu0_hashILj256ELj64ELj4E21rocsparse_complex_numIdEEEviPKiS4_PT2_S4_PiS4_S7_S7_d21rocsparse_index_base_imNS_24const_host_device_scalarIfEENS9_IdEENS9_IS5_EEb
                                        ; -- End function
	.set _ZN9rocsparseL12csrilu0_hashILj256ELj64ELj4E21rocsparse_complex_numIdEEEviPKiS4_PT2_S4_PiS4_S7_S7_d21rocsparse_index_base_imNS_24const_host_device_scalarIfEENS9_IdEENS9_IS5_EEb.num_vgpr, 44
	.set _ZN9rocsparseL12csrilu0_hashILj256ELj64ELj4E21rocsparse_complex_numIdEEEviPKiS4_PT2_S4_PiS4_S7_S7_d21rocsparse_index_base_imNS_24const_host_device_scalarIfEENS9_IdEENS9_IS5_EEb.num_agpr, 0
	.set _ZN9rocsparseL12csrilu0_hashILj256ELj64ELj4E21rocsparse_complex_numIdEEEviPKiS4_PT2_S4_PiS4_S7_S7_d21rocsparse_index_base_imNS_24const_host_device_scalarIfEENS9_IdEENS9_IS5_EEb.numbered_sgpr, 66
	.set _ZN9rocsparseL12csrilu0_hashILj256ELj64ELj4E21rocsparse_complex_numIdEEEviPKiS4_PT2_S4_PiS4_S7_S7_d21rocsparse_index_base_imNS_24const_host_device_scalarIfEENS9_IdEENS9_IS5_EEb.num_named_barrier, 0
	.set _ZN9rocsparseL12csrilu0_hashILj256ELj64ELj4E21rocsparse_complex_numIdEEEviPKiS4_PT2_S4_PiS4_S7_S7_d21rocsparse_index_base_imNS_24const_host_device_scalarIfEENS9_IdEENS9_IS5_EEb.private_seg_size, 16
	.set _ZN9rocsparseL12csrilu0_hashILj256ELj64ELj4E21rocsparse_complex_numIdEEEviPKiS4_PT2_S4_PiS4_S7_S7_d21rocsparse_index_base_imNS_24const_host_device_scalarIfEENS9_IdEENS9_IS5_EEb.uses_vcc, 1
	.set _ZN9rocsparseL12csrilu0_hashILj256ELj64ELj4E21rocsparse_complex_numIdEEEviPKiS4_PT2_S4_PiS4_S7_S7_d21rocsparse_index_base_imNS_24const_host_device_scalarIfEENS9_IdEENS9_IS5_EEb.uses_flat_scratch, 1
	.set _ZN9rocsparseL12csrilu0_hashILj256ELj64ELj4E21rocsparse_complex_numIdEEEviPKiS4_PT2_S4_PiS4_S7_S7_d21rocsparse_index_base_imNS_24const_host_device_scalarIfEENS9_IdEENS9_IS5_EEb.has_dyn_sized_stack, 0
	.set _ZN9rocsparseL12csrilu0_hashILj256ELj64ELj4E21rocsparse_complex_numIdEEEviPKiS4_PT2_S4_PiS4_S7_S7_d21rocsparse_index_base_imNS_24const_host_device_scalarIfEENS9_IdEENS9_IS5_EEb.has_recursion, 0
	.set _ZN9rocsparseL12csrilu0_hashILj256ELj64ELj4E21rocsparse_complex_numIdEEEviPKiS4_PT2_S4_PiS4_S7_S7_d21rocsparse_index_base_imNS_24const_host_device_scalarIfEENS9_IdEENS9_IS5_EEb.has_indirect_call, 0
	.section	.AMDGPU.csdata,"",@progbits
; Kernel info:
; codeLenInByte = 3384
; TotalNumSgprs: 72
; NumVgprs: 44
; ScratchSize: 16
; MemoryBound: 0
; FloatMode: 240
; IeeeMode: 1
; LDSByteSize: 8192 bytes/workgroup (compile time only)
; SGPRBlocks: 8
; VGPRBlocks: 10
; NumSGPRsForWavesPerEU: 72
; NumVGPRsForWavesPerEU: 44
; Occupancy: 5
; WaveLimiterHint : 1
; COMPUTE_PGM_RSRC2:SCRATCH_EN: 1
; COMPUTE_PGM_RSRC2:USER_SGPR: 8
; COMPUTE_PGM_RSRC2:TRAP_HANDLER: 0
; COMPUTE_PGM_RSRC2:TGID_X_EN: 1
; COMPUTE_PGM_RSRC2:TGID_Y_EN: 0
; COMPUTE_PGM_RSRC2:TGID_Z_EN: 0
; COMPUTE_PGM_RSRC2:TIDIG_COMP_CNT: 0
	.section	.text._ZN9rocsparseL12csrilu0_hashILj256ELj64ELj8E21rocsparse_complex_numIdEEEviPKiS4_PT2_S4_PiS4_S7_S7_d21rocsparse_index_base_imNS_24const_host_device_scalarIfEENS9_IdEENS9_IS5_EEb,"axG",@progbits,_ZN9rocsparseL12csrilu0_hashILj256ELj64ELj8E21rocsparse_complex_numIdEEEviPKiS4_PT2_S4_PiS4_S7_S7_d21rocsparse_index_base_imNS_24const_host_device_scalarIfEENS9_IdEENS9_IS5_EEb,comdat
	.globl	_ZN9rocsparseL12csrilu0_hashILj256ELj64ELj8E21rocsparse_complex_numIdEEEviPKiS4_PT2_S4_PiS4_S7_S7_d21rocsparse_index_base_imNS_24const_host_device_scalarIfEENS9_IdEENS9_IS5_EEb ; -- Begin function _ZN9rocsparseL12csrilu0_hashILj256ELj64ELj8E21rocsparse_complex_numIdEEEviPKiS4_PT2_S4_PiS4_S7_S7_d21rocsparse_index_base_imNS_24const_host_device_scalarIfEENS9_IdEENS9_IS5_EEb
	.p2align	8
	.type	_ZN9rocsparseL12csrilu0_hashILj256ELj64ELj8E21rocsparse_complex_numIdEEEviPKiS4_PT2_S4_PiS4_S7_S7_d21rocsparse_index_base_imNS_24const_host_device_scalarIfEENS9_IdEENS9_IS5_EEb,@function
_ZN9rocsparseL12csrilu0_hashILj256ELj64ELj8E21rocsparse_complex_numIdEEEviPKiS4_PT2_S4_PiS4_S7_S7_d21rocsparse_index_base_imNS_24const_host_device_scalarIfEENS9_IdEENS9_IS5_EEb: ; @_ZN9rocsparseL12csrilu0_hashILj256ELj64ELj8E21rocsparse_complex_numIdEEEviPKiS4_PT2_S4_PiS4_S7_S7_d21rocsparse_index_base_imNS_24const_host_device_scalarIfEENS9_IdEENS9_IS5_EEb
; %bb.0:
	s_add_u32 flat_scratch_lo, s6, s9
	s_load_dword s6, s[4:5], 0x80
	s_load_dwordx8 s[36:43], s[4:5], 0x58
	s_load_dwordx2 s[12:13], s[4:5], 0x78
	s_load_dwordx2 s[10:11], s[4:5], 0x50
	s_addc_u32 flat_scratch_hi, s7, 0
	s_add_u32 s0, s0, s9
	s_addc_u32 s1, s1, 0
	s_waitcnt lgkmcnt(0)
	s_bitcmp1_b32 s6, 0
	s_cselect_b64 s[14:15], -1, 0
	s_cmp_eq_u32 s11, 0
	s_cselect_b64 s[20:21], -1, 0
	s_cmp_lg_u32 s11, 0
	s_cselect_b64 s[16:17], -1, 0
	s_or_b64 s[22:23], s[20:21], s[14:15]
	s_xor_b64 s[6:7], s[22:23], -1
	v_mov_b32_e32 v1, s43
	s_and_b64 s[18:19], s[20:21], exec
	buffer_store_dword v1, off, s[0:3], 0 offset:4
	v_mov_b32_e32 v1, s42
	s_cselect_b32 s19, 0, s41
	s_cselect_b32 s18, 0, s40
	s_and_b64 vcc, exec, s[22:23]
	buffer_store_dword v1, off, s[0:3], 0
	s_cbranch_vccnz .LBB49_2
; %bb.1:
	s_load_dword s9, s[38:39], 0x0
	s_mov_b64 s[18:19], s[40:41]
	s_waitcnt lgkmcnt(0)
	v_mov_b32_e32 v25, s9
	v_mov_b32_e32 v15, s18
	s_andn2_b64 vcc, exec, s[6:7]
	v_mov_b32_e32 v16, s19
	s_cbranch_vccz .LBB49_3
	s_branch .LBB49_4
.LBB49_2:
	v_mov_b32_e32 v1, s38
	v_cndmask_b32_e64 v25, v1, 0, s[20:21]
	v_mov_b32_e32 v15, s18
	s_andn2_b64 vcc, exec, s[6:7]
	v_mov_b32_e32 v16, s19
	s_cbranch_vccnz .LBB49_4
.LBB49_3:
	v_mov_b32_e32 v1, s40
	v_mov_b32_e32 v2, s41
	flat_load_dwordx2 v[15:16], v[1:2]
.LBB49_4:
	v_cndmask_b32_e64 v1, 0, 1, s[16:17]
	v_mov_b32_e32 v3, 0
	v_cmp_ne_u32_e64 s[6:7], 1, v1
	v_mov_b32_e32 v1, 0
	v_mov_b32_e32 v4, 0
	s_andn2_b64 vcc, exec, s[16:17]
	v_mov_b32_e32 v2, 0
	s_cbranch_vccnz .LBB49_7
; %bb.5:
	s_xor_b64 s[18:19], s[14:15], -1
	s_mov_b64 s[16:17], src_private_base
	s_and_b64 s[14:15], s[14:15], exec
	s_cselect_b32 s9, s17, s43
	s_cselect_b32 s11, 0, s42
	v_mov_b32_e32 v1, s11
	v_mov_b32_e32 v2, s9
	flat_load_dwordx2 v[1:2], v[1:2]
	v_mov_b32_e32 v3, s12
	s_andn2_b64 vcc, exec, s[18:19]
	v_mov_b32_e32 v4, s13
	s_cbranch_vccnz .LBB49_7
; %bb.6:
	v_mov_b32_e32 v3, s42
	v_mov_b32_e32 v4, s43
	flat_load_dwordx2 v[3:4], v[3:4] offset:8
.LBB49_7:
	v_and_b32_e32 v24, 63, v0
	v_lshrrev_b32_e32 v5, 6, v0
	v_lshlrev_b32_e32 v7, 11, v5
	v_lshlrev_b32_e32 v8, 2, v24
	s_movk_i32 s9, 0x2000
	v_or_b32_e32 v6, 0xffffffc0, v24
	v_or3_b32 v7, v7, v8, s9
	s_mov_b64 s[12:13], 0
	v_mov_b32_e32 v8, -1
	s_movk_i32 s9, 0x1bf
.LBB49_8:                               ; =>This Inner Loop Header: Depth=1
	v_add_u32_e32 v6, 64, v6
	v_cmp_lt_u32_e32 vcc, s9, v6
	ds_write_b32 v7, v8
	s_or_b64 s[12:13], vcc, s[12:13]
	v_add_u32_e32 v7, 0x100, v7
	s_andn2_b64 exec, exec, s[12:13]
	s_cbranch_execnz .LBB49_8
; %bb.9:
	s_or_b64 exec, exec, s[12:13]
	s_load_dword s9, s[4:5], 0x0
	s_lshl_b32 s8, s8, 2
	s_and_b32 s8, s8, 0x3fffffc
	v_or_b32_e32 v5, s8, v5
	s_waitcnt lgkmcnt(0)
	v_cmp_gt_i32_e32 vcc, s9, v5
	s_and_saveexec_b64 s[8:9], vcc
	s_cbranch_execz .LBB49_87
; %bb.10:
	s_load_dwordx16 s[12:27], s[4:5], 0x8
	v_lshlrev_b32_e32 v5, 2, v5
	v_lshlrev_b32_e32 v0, 5, v0
	v_and_b32_e32 v0, 0x1800, v0
	v_or_b32_e32 v26, 0x2000, v0
	s_waitcnt lgkmcnt(0)
	global_load_dword v17, v5, s[22:23]
	v_mov_b32_e32 v6, s13
	v_mov_b32_e32 v8, s19
	s_waitcnt vmcnt(0)
	v_ashrrev_i32_e32 v18, 31, v17
	v_lshlrev_b64 v[13:14], 2, v[17:18]
	v_add_co_u32_e32 v5, vcc, s12, v13
	v_addc_co_u32_e32 v6, vcc, v6, v14, vcc
	global_load_dwordx2 v[5:6], v[5:6], off
	v_add_co_u32_e32 v7, vcc, s18, v13
	v_addc_co_u32_e32 v8, vcc, v8, v14, vcc
	global_load_dword v18, v[7:8], off
	s_waitcnt vmcnt(1)
	v_subrev_u32_e32 v19, s10, v5
	v_subrev_u32_e32 v7, s10, v6
	v_add_u32_e32 v5, v19, v24
	v_cmp_lt_i32_e32 vcc, v5, v7
	s_and_saveexec_b64 s[8:9], vcc
	s_cbranch_execz .LBB49_33
; %bb.11:
	s_mov_b64 s[22:23], 0
	v_mov_b32_e32 v8, s15
	s_movk_i32 s11, 0x67
	v_mov_b32_e32 v9, -1
	s_branch .LBB49_13
.LBB49_12:                              ;   in Loop: Header=BB49_13 Depth=1
	s_or_b64 exec, exec, s[28:29]
	v_add_u32_e32 v5, 64, v5
	v_cmp_ge_i32_e32 vcc, v5, v7
	s_or_b64 s[22:23], vcc, s[22:23]
	s_andn2_b64 exec, exec, s[22:23]
	s_cbranch_execz .LBB49_33
.LBB49_13:                              ; =>This Loop Header: Depth=1
                                        ;     Child Loop BB49_22 Depth 2
	v_ashrrev_i32_e32 v6, 31, v5
	v_lshlrev_b64 v[10:11], 2, v[5:6]
	s_mov_b64 s[30:31], 0
	v_add_co_u32_e32 v10, vcc, s14, v10
	v_addc_co_u32_e32 v11, vcc, v8, v11, vcc
	global_load_dword v6, v[10:11], off
	v_mov_b32_e32 v10, 0x200
                                        ; implicit-def: $sgpr28_sgpr29
                                        ; implicit-def: $sgpr34_sgpr35
                                        ; implicit-def: $sgpr38_sgpr39
	s_waitcnt vmcnt(0)
	v_mul_lo_u32 v12, v6, s11
	s_branch .LBB49_22
.LBB49_14:                              ;   in Loop: Header=BB49_22 Depth=2
	s_or_b64 exec, exec, s[58:59]
	s_orn2_b64 s[54:55], s[54:55], exec
	s_orn2_b64 s[56:57], s[56:57], exec
.LBB49_15:                              ;   in Loop: Header=BB49_22 Depth=2
	s_or_b64 exec, exec, s[52:53]
	s_and_b64 s[54:55], s[54:55], exec
	s_orn2_b64 s[52:53], s[56:57], exec
.LBB49_16:                              ;   in Loop: Header=BB49_22 Depth=2
	s_or_b64 exec, exec, s[50:51]
	s_orn2_b64 s[54:55], s[54:55], exec
	s_orn2_b64 s[50:51], s[52:53], exec
.LBB49_17:                              ;   in Loop: Header=BB49_22 Depth=2
	s_or_b64 exec, exec, s[48:49]
	s_and_b64 s[52:53], s[54:55], exec
	s_orn2_b64 s[48:49], s[50:51], exec
.LBB49_18:                              ;   in Loop: Header=BB49_22 Depth=2
	s_or_b64 exec, exec, s[46:47]
	s_orn2_b64 s[46:47], s[52:53], exec
	s_orn2_b64 s[48:49], s[48:49], exec
.LBB49_19:                              ;   in Loop: Header=BB49_22 Depth=2
	s_or_b64 exec, exec, s[44:45]
	s_and_b64 s[46:47], s[46:47], exec
	s_orn2_b64 s[44:45], s[48:49], exec
.LBB49_20:                              ;   in Loop: Header=BB49_22 Depth=2
	s_or_b64 exec, exec, s[42:43]
	s_andn2_b64 s[38:39], s[38:39], exec
	s_and_b64 s[42:43], s[46:47], exec
	s_or_b64 s[38:39], s[38:39], s[42:43]
	s_andn2_b64 s[34:35], s[34:35], exec
	s_and_b64 s[42:43], s[44:45], exec
	s_or_b64 s[34:35], s[34:35], s[42:43]
.LBB49_21:                              ;   in Loop: Header=BB49_22 Depth=2
	s_or_b64 exec, exec, s[40:41]
	s_and_b64 s[40:41], exec, s[34:35]
	s_or_b64 s[30:31], s[40:41], s[30:31]
	s_andn2_b64 s[28:29], s[28:29], exec
	s_and_b64 s[40:41], s[38:39], exec
	s_or_b64 s[28:29], s[28:29], s[40:41]
	s_andn2_b64 exec, exec, s[30:31]
	s_cbranch_execz .LBB49_31
.LBB49_22:                              ;   Parent Loop BB49_13 Depth=1
                                        ; =>  This Inner Loop Header: Depth=2
	v_and_b32_e32 v11, 0x1ff, v12
	v_lshl_add_u32 v20, v11, 2, v26
	ds_read_b32 v21, v20
	s_or_b64 s[38:39], s[38:39], exec
	s_or_b64 s[34:35], s[34:35], exec
	s_waitcnt lgkmcnt(0)
	v_cmp_ne_u32_e32 vcc, v21, v6
	s_and_saveexec_b64 s[40:41], vcc
	s_cbranch_execz .LBB49_21
; %bb.23:                               ;   in Loop: Header=BB49_22 Depth=2
	ds_cmpst_rtn_b32 v20, v20, v9, v6
	s_mov_b64 s[44:45], -1
	s_mov_b64 s[46:47], 0
	s_waitcnt lgkmcnt(0)
	v_cmp_ne_u32_e32 vcc, -1, v20
	s_and_saveexec_b64 s[42:43], vcc
	s_cbranch_execz .LBB49_20
; %bb.24:                               ;   in Loop: Header=BB49_22 Depth=2
	v_add_u32_e32 v11, 1, v12
	v_and_b32_e32 v11, 0x1ff, v11
	v_lshl_add_u32 v20, v11, 2, v26
	ds_read_b32 v21, v20
	s_mov_b64 s[48:49], -1
	s_mov_b64 s[46:47], -1
	s_waitcnt lgkmcnt(0)
	v_cmp_ne_u32_e32 vcc, v21, v6
	s_and_saveexec_b64 s[44:45], vcc
	s_cbranch_execz .LBB49_19
; %bb.25:                               ;   in Loop: Header=BB49_22 Depth=2
	ds_cmpst_rtn_b32 v20, v20, v9, v6
	s_mov_b64 s[52:53], 0
	s_waitcnt lgkmcnt(0)
	v_cmp_ne_u32_e32 vcc, -1, v20
	s_and_saveexec_b64 s[46:47], vcc
	s_cbranch_execz .LBB49_18
; %bb.26:                               ;   in Loop: Header=BB49_22 Depth=2
	v_add_u32_e32 v11, 2, v12
	v_and_b32_e32 v11, 0x1ff, v11
	v_lshl_add_u32 v20, v11, 2, v26
	ds_read_b32 v21, v20
	s_mov_b64 s[50:51], -1
	s_mov_b64 s[54:55], -1
	s_waitcnt lgkmcnt(0)
	v_cmp_ne_u32_e32 vcc, v21, v6
	s_and_saveexec_b64 s[48:49], vcc
	s_cbranch_execz .LBB49_17
; %bb.27:                               ;   in Loop: Header=BB49_22 Depth=2
	ds_cmpst_rtn_b32 v20, v20, v9, v6
	s_mov_b64 s[52:53], -1
	s_mov_b64 s[54:55], 0
	s_waitcnt lgkmcnt(0)
	v_cmp_ne_u32_e32 vcc, -1, v20
	s_and_saveexec_b64 s[50:51], vcc
	s_cbranch_execz .LBB49_16
; %bb.28:                               ;   in Loop: Header=BB49_22 Depth=2
	v_add_u32_e32 v11, 3, v12
	v_and_b32_e32 v11, 0x1ff, v11
	v_lshl_add_u32 v20, v11, 2, v26
	ds_read_b32 v12, v20
	s_mov_b64 s[56:57], -1
	s_mov_b64 s[54:55], -1
	s_waitcnt lgkmcnt(0)
	v_cmp_ne_u32_e32 vcc, v12, v6
                                        ; implicit-def: $vgpr12
	s_and_saveexec_b64 s[52:53], vcc
	s_cbranch_execz .LBB49_15
; %bb.29:                               ;   in Loop: Header=BB49_22 Depth=2
	ds_cmpst_rtn_b32 v12, v20, v9, v6
	s_mov_b64 s[54:55], 0
	s_waitcnt lgkmcnt(0)
	v_cmp_ne_u32_e32 vcc, -1, v12
                                        ; implicit-def: $vgpr12
	s_and_saveexec_b64 s[58:59], vcc
	s_cbranch_execz .LBB49_14
; %bb.30:                               ;   in Loop: Header=BB49_22 Depth=2
	v_add_u32_e32 v10, -4, v10
	v_cmp_eq_u32_e32 vcc, 0, v10
	s_mov_b64 s[54:55], exec
	v_add_u32_e32 v12, 1, v11
	s_orn2_b64 s[56:57], vcc, exec
	s_branch .LBB49_14
.LBB49_31:                              ;   in Loop: Header=BB49_13 Depth=1
	s_or_b64 exec, exec, s[30:31]
	s_xor_b64 s[28:29], s[28:29], -1
	s_and_saveexec_b64 s[30:31], s[28:29]
	s_xor_b64 s[28:29], exec, s[30:31]
	s_cbranch_execz .LBB49_12
; %bb.32:                               ;   in Loop: Header=BB49_13 Depth=1
	v_lshl_add_u32 v6, v11, 2, v0
	ds_write_b32 v6, v5
	s_branch .LBB49_12
.LBB49_33:
	s_or_b64 exec, exec, s[8:9]
	s_waitcnt vmcnt(0)
	v_cmp_lt_i32_e32 vcc, v19, v18
	s_waitcnt lgkmcnt(0)
	s_and_saveexec_b64 s[22:23], vcc
	s_cbranch_execz .LBB49_63
; %bb.34:
	v_add_u32_e32 v27, 1, v24
	s_mov_b64 s[28:29], 0
	v_mov_b32_e32 v28, s15
	v_mov_b32_e32 v29, s17
	;; [unrolled: 1-line block ×5, first 2 shown]
	s_movk_i32 s11, 0x67
	s_branch .LBB49_37
.LBB49_35:                              ;   in Loop: Header=BB49_37 Depth=1
	s_or_b64 exec, exec, s[30:31]
	v_add_u32_e32 v19, 1, v19
	v_cmp_ge_i32_e32 vcc, v19, v18
	s_orn2_b64 s[30:31], vcc, exec
.LBB49_36:                              ;   in Loop: Header=BB49_37 Depth=1
	s_or_b64 exec, exec, s[8:9]
	s_and_b64 s[8:9], exec, s[30:31]
	s_or_b64 s[28:29], s[8:9], s[28:29]
	s_andn2_b64 exec, exec, s[28:29]
	s_cbranch_execz .LBB49_63
.LBB49_37:                              ; =>This Loop Header: Depth=1
                                        ;     Child Loop BB49_38 Depth 2
                                        ;     Child Loop BB49_43 Depth 2
                                        ;       Child Loop BB49_52 Depth 3
	v_ashrrev_i32_e32 v20, 31, v19
	v_lshlrev_b64 v[5:6], 2, v[19:20]
	s_mov_b64 s[8:9], 0
	v_add_co_u32_e32 v5, vcc, s14, v5
	v_addc_co_u32_e32 v6, vcc, v28, v6, vcc
	global_load_dword v9, v[5:6], off
	v_lshlrev_b64 v[5:6], 4, v[19:20]
	v_add_co_u32_e32 v20, vcc, s16, v5
	v_addc_co_u32_e32 v21, vcc, v29, v6, vcc
	global_load_dwordx4 v[5:8], v[20:21], off
	s_waitcnt vmcnt(1)
	v_subrev_u32_e32 v9, s10, v9
	v_ashrrev_i32_e32 v10, 31, v9
	v_lshlrev_b64 v[9:10], 2, v[9:10]
	v_add_co_u32_e32 v22, vcc, s12, v9
	v_addc_co_u32_e32 v23, vcc, v30, v10, vcc
	v_add_co_u32_e32 v33, vcc, s18, v9
	v_addc_co_u32_e32 v34, vcc, v31, v10, vcc
	global_load_dword v11, v[22:23], off offset:4
	global_load_dword v12, v[33:34], off
	v_add_co_u32_e32 v9, vcc, s20, v9
	v_addc_co_u32_e32 v10, vcc, v32, v10, vcc
.LBB49_38:                              ;   Parent Loop BB49_37 Depth=1
                                        ; =>  This Inner Loop Header: Depth=2
	global_load_dword v22, v[9:10], off glc
	s_waitcnt vmcnt(0)
	v_cmp_ne_u32_e32 vcc, 0, v22
	s_or_b64 s[8:9], vcc, s[8:9]
	s_andn2_b64 exec, exec, s[8:9]
	s_cbranch_execnz .LBB49_38
; %bb.39:                               ;   in Loop: Header=BB49_37 Depth=1
	s_or_b64 exec, exec, s[8:9]
	v_subrev_u32_e32 v33, s10, v11
	v_add_u32_e32 v9, -1, v33
	v_cmp_eq_u32_e32 vcc, -1, v12
	v_cndmask_b32_e32 v22, v12, v9, vcc
	v_ashrrev_i32_e32 v23, 31, v22
	v_lshlrev_b64 v[9:10], 4, v[22:23]
	buffer_wbinvl1_vol
	v_add_co_u32_e32 v9, vcc, s16, v9
	v_addc_co_u32_e32 v10, vcc, v29, v10, vcc
	global_load_dwordx4 v[9:12], v[9:10], off
	s_mov_b64 s[30:31], -1
	s_waitcnt vmcnt(0)
	v_cmp_neq_f64_e32 vcc, 0, v[9:10]
	v_cmp_neq_f64_e64 s[8:9], 0, v[11:12]
	s_or_b64 s[34:35], vcc, s[8:9]
	s_and_saveexec_b64 s[8:9], s[34:35]
	s_cbranch_execz .LBB49_36
; %bb.40:                               ;   in Loop: Header=BB49_37 Depth=1
	v_mul_f64 v[34:35], v[11:12], v[11:12]
	v_fma_f64 v[34:35], v[9:10], v[9:10], v[34:35]
	v_div_scale_f64 v[36:37], s[30:31], v[34:35], v[34:35], 1.0
	v_rcp_f64_e32 v[38:39], v[36:37]
	v_fma_f64 v[40:41], -v[36:37], v[38:39], 1.0
	v_fma_f64 v[38:39], v[38:39], v[40:41], v[38:39]
	v_div_scale_f64 v[40:41], vcc, 1.0, v[34:35], 1.0
	v_fma_f64 v[42:43], -v[36:37], v[38:39], 1.0
	v_fma_f64 v[38:39], v[38:39], v[42:43], v[38:39]
	v_mul_f64 v[42:43], v[40:41], v[38:39]
	v_fma_f64 v[36:37], -v[36:37], v[42:43], v[40:41]
	v_div_fmas_f64 v[36:37], v[36:37], v[38:39], v[42:43]
	v_mul_f64 v[38:39], v[7:8], v[11:12]
	v_mul_f64 v[11:12], v[11:12], -v[5:6]
	v_fma_f64 v[5:6], v[5:6], v[9:10], v[38:39]
	v_fma_f64 v[7:8], v[7:8], v[9:10], v[11:12]
	v_add_u32_e32 v9, v27, v22
	v_cmp_lt_i32_e32 vcc, v9, v33
	v_div_fixup_f64 v[34:35], v[36:37], v[34:35], 1.0
	v_mul_f64 v[5:6], v[5:6], v[34:35]
	v_mul_f64 v[7:8], v[7:8], v[34:35]
	global_store_dwordx4 v[20:21], v[5:8], off
	s_and_saveexec_b64 s[30:31], vcc
	s_cbranch_execz .LBB49_35
; %bb.41:                               ;   in Loop: Header=BB49_37 Depth=1
	s_mov_b64 s[34:35], 0
	s_branch .LBB49_43
.LBB49_42:                              ;   in Loop: Header=BB49_43 Depth=2
	s_or_b64 exec, exec, s[38:39]
	v_add_u32_e32 v9, 64, v9
	v_cmp_ge_i32_e32 vcc, v9, v33
	s_or_b64 s[34:35], vcc, s[34:35]
	s_andn2_b64 exec, exec, s[34:35]
	s_cbranch_execz .LBB49_35
.LBB49_43:                              ;   Parent Loop BB49_37 Depth=1
                                        ; =>  This Loop Header: Depth=2
                                        ;       Child Loop BB49_52 Depth 3
	v_ashrrev_i32_e32 v10, 31, v9
	v_lshlrev_b64 v[11:12], 2, v[9:10]
	s_mov_b64 s[40:41], 0
	v_add_co_u32_e32 v11, vcc, s14, v11
	v_addc_co_u32_e32 v12, vcc, v28, v12, vcc
	global_load_dword v11, v[11:12], off
	v_mov_b32_e32 v12, 0x200
                                        ; implicit-def: $sgpr38_sgpr39
                                        ; implicit-def: $sgpr42_sgpr43
                                        ; implicit-def: $sgpr44_sgpr45
	s_waitcnt vmcnt(0)
	v_mul_lo_u32 v21, v11, s11
	s_branch .LBB49_52
.LBB49_44:                              ;   in Loop: Header=BB49_52 Depth=3
	s_or_b64 exec, exec, s[64:65]
	s_orn2_b64 s[60:61], s[60:61], exec
	s_orn2_b64 s[62:63], s[62:63], exec
.LBB49_45:                              ;   in Loop: Header=BB49_52 Depth=3
	s_or_b64 exec, exec, s[58:59]
	s_and_b64 s[60:61], s[60:61], exec
	s_orn2_b64 s[58:59], s[62:63], exec
.LBB49_46:                              ;   in Loop: Header=BB49_52 Depth=3
	s_or_b64 exec, exec, s[56:57]
	s_orn2_b64 s[60:61], s[60:61], exec
	s_orn2_b64 s[56:57], s[58:59], exec
.LBB49_47:                              ;   in Loop: Header=BB49_52 Depth=3
	s_or_b64 exec, exec, s[54:55]
	s_and_b64 s[58:59], s[60:61], exec
	s_orn2_b64 s[54:55], s[56:57], exec
.LBB49_48:                              ;   in Loop: Header=BB49_52 Depth=3
	s_or_b64 exec, exec, s[52:53]
	s_orn2_b64 s[52:53], s[58:59], exec
	s_orn2_b64 s[54:55], s[54:55], exec
.LBB49_49:                              ;   in Loop: Header=BB49_52 Depth=3
	s_or_b64 exec, exec, s[50:51]
	s_and_b64 s[52:53], s[52:53], exec
	s_orn2_b64 s[50:51], s[54:55], exec
.LBB49_50:                              ;   in Loop: Header=BB49_52 Depth=3
	s_or_b64 exec, exec, s[48:49]
	s_andn2_b64 s[44:45], s[44:45], exec
	s_and_b64 s[48:49], s[52:53], exec
	s_or_b64 s[44:45], s[44:45], s[48:49]
	s_andn2_b64 s[42:43], s[42:43], exec
	s_and_b64 s[48:49], s[50:51], exec
	s_or_b64 s[42:43], s[42:43], s[48:49]
.LBB49_51:                              ;   in Loop: Header=BB49_52 Depth=3
	s_or_b64 exec, exec, s[46:47]
	s_and_b64 s[46:47], exec, s[42:43]
	s_or_b64 s[40:41], s[46:47], s[40:41]
	s_andn2_b64 s[38:39], s[38:39], exec
	s_and_b64 s[46:47], s[44:45], exec
	s_or_b64 s[38:39], s[38:39], s[46:47]
	s_andn2_b64 exec, exec, s[40:41]
	s_cbranch_execz .LBB49_61
.LBB49_52:                              ;   Parent Loop BB49_37 Depth=1
                                        ;     Parent Loop BB49_43 Depth=2
                                        ; =>    This Inner Loop Header: Depth=3
	v_and_b32_e32 v20, 0x1ff, v21
	v_lshl_add_u32 v22, v20, 2, v26
	ds_read_b32 v22, v22
	s_or_b64 s[44:45], s[44:45], exec
	s_or_b64 s[42:43], s[42:43], exec
	s_waitcnt lgkmcnt(0)
	v_cmp_ne_u32_e32 vcc, -1, v22
	s_and_saveexec_b64 s[46:47], vcc
	s_cbranch_execz .LBB49_51
; %bb.53:                               ;   in Loop: Header=BB49_52 Depth=3
	v_cmp_ne_u32_e32 vcc, v22, v11
	s_mov_b64 s[50:51], -1
	s_mov_b64 s[52:53], 0
	s_and_saveexec_b64 s[48:49], vcc
	s_cbranch_execz .LBB49_50
; %bb.54:                               ;   in Loop: Header=BB49_52 Depth=3
	v_add_u32_e32 v20, 1, v21
	v_and_b32_e32 v20, 0x1ff, v20
	v_lshl_add_u32 v22, v20, 2, v26
	ds_read_b32 v22, v22
	s_mov_b64 s[54:55], -1
	s_mov_b64 s[52:53], -1
	s_waitcnt lgkmcnt(0)
	v_cmp_ne_u32_e32 vcc, -1, v22
	s_and_saveexec_b64 s[50:51], vcc
	s_cbranch_execz .LBB49_49
; %bb.55:                               ;   in Loop: Header=BB49_52 Depth=3
	v_cmp_ne_u32_e32 vcc, v22, v11
	s_mov_b64 s[58:59], 0
	s_and_saveexec_b64 s[52:53], vcc
	s_cbranch_execz .LBB49_48
; %bb.56:                               ;   in Loop: Header=BB49_52 Depth=3
	v_add_u32_e32 v20, 2, v21
	v_and_b32_e32 v20, 0x1ff, v20
	v_lshl_add_u32 v22, v20, 2, v26
	ds_read_b32 v22, v22
	s_mov_b64 s[56:57], -1
	s_mov_b64 s[60:61], -1
	s_waitcnt lgkmcnt(0)
	v_cmp_ne_u32_e32 vcc, -1, v22
	s_and_saveexec_b64 s[54:55], vcc
	s_cbranch_execz .LBB49_47
; %bb.57:                               ;   in Loop: Header=BB49_52 Depth=3
	v_cmp_ne_u32_e32 vcc, v22, v11
	s_mov_b64 s[58:59], -1
	s_mov_b64 s[60:61], 0
	s_and_saveexec_b64 s[56:57], vcc
	s_cbranch_execz .LBB49_46
; %bb.58:                               ;   in Loop: Header=BB49_52 Depth=3
	v_add_u32_e32 v20, 3, v21
	v_and_b32_e32 v20, 0x1ff, v20
	v_lshl_add_u32 v21, v20, 2, v26
	ds_read_b32 v22, v21
	s_mov_b64 s[62:63], -1
	s_mov_b64 s[60:61], -1
                                        ; implicit-def: $vgpr21
	s_waitcnt lgkmcnt(0)
	v_cmp_ne_u32_e32 vcc, -1, v22
	s_and_saveexec_b64 s[58:59], vcc
	s_cbranch_execz .LBB49_45
; %bb.59:                               ;   in Loop: Header=BB49_52 Depth=3
	v_cmp_ne_u32_e32 vcc, v22, v11
	s_mov_b64 s[60:61], 0
                                        ; implicit-def: $vgpr21
	s_and_saveexec_b64 s[64:65], vcc
	s_cbranch_execz .LBB49_44
; %bb.60:                               ;   in Loop: Header=BB49_52 Depth=3
	v_add_u32_e32 v12, -4, v12
	v_cmp_eq_u32_e32 vcc, 0, v12
	s_mov_b64 s[60:61], exec
	v_add_u32_e32 v21, 1, v20
	s_orn2_b64 s[62:63], vcc, exec
	s_branch .LBB49_44
.LBB49_61:                              ;   in Loop: Header=BB49_43 Depth=2
	s_or_b64 exec, exec, s[40:41]
	s_xor_b64 s[38:39], s[38:39], -1
	s_and_saveexec_b64 s[40:41], s[38:39]
	s_xor_b64 s[38:39], exec, s[40:41]
	s_cbranch_execz .LBB49_42
; %bb.62:                               ;   in Loop: Header=BB49_43 Depth=2
	v_lshl_add_u32 v11, v20, 2, v0
	ds_read_b32 v11, v11
	v_lshlrev_b64 v[20:21], 4, v[9:10]
	v_add_co_u32_e32 v38, vcc, s16, v20
	s_waitcnt lgkmcnt(0)
	v_ashrrev_i32_e32 v12, 31, v11
	v_lshlrev_b64 v[10:11], 4, v[11:12]
	v_addc_co_u32_e32 v39, vcc, v29, v21, vcc
	v_add_co_u32_e32 v10, vcc, s16, v10
	v_addc_co_u32_e32 v11, vcc, v29, v11, vcc
	global_load_dwordx4 v[20:23], v[38:39], off
	global_load_dwordx4 v[34:37], v[10:11], off
	s_waitcnt vmcnt(0)
	v_fma_f64 v[34:35], -v[5:6], v[20:21], v[34:35]
	v_fma_f64 v[36:37], -v[7:8], v[20:21], v[36:37]
	v_fma_f64 v[20:21], v[7:8], v[22:23], v[34:35]
	v_fma_f64 v[22:23], -v[5:6], v[22:23], v[36:37]
	global_store_dwordx4 v[10:11], v[20:23], off
	s_branch .LBB49_42
.LBB49_63:
	s_or_b64 exec, exec, s[22:23]
	v_cmp_lt_i32_e32 vcc, -1, v18
	s_and_saveexec_b64 s[12:13], vcc
	s_cbranch_execz .LBB49_85
; %bb.64:
	v_mov_b32_e32 v19, 0
	v_lshlrev_b64 v[5:6], 4, v[18:19]
	v_mov_b32_e32 v0, s17
	v_add_co_u32_e32 v9, vcc, s16, v5
	v_addc_co_u32_e32 v10, vcc, v0, v6, vcc
	global_load_dwordx4 v[5:8], v[9:10], off
                                        ; implicit-def: $vgpr20_vgpr21
	s_waitcnt vmcnt(0)
	v_cmp_gt_f64_e32 vcc, 0, v[5:6]
	v_xor_b32_e32 v0, 0x80000000, v6
	v_xor_b32_e32 v18, 0x80000000, v8
	v_mov_b32_e32 v11, v5
	v_cndmask_b32_e32 v12, v6, v0, vcc
	v_cmp_gt_f64_e32 vcc, 0, v[7:8]
	v_cndmask_b32_e32 v19, v8, v18, vcc
	v_mov_b32_e32 v18, v7
	v_cmp_ngt_f64_e32 vcc, v[11:12], v[18:19]
	s_and_saveexec_b64 s[8:9], vcc
	s_xor_b64 s[8:9], exec, s[8:9]
	s_cbranch_execz .LBB49_68
; %bb.65:
	v_cmp_neq_f64_e32 vcc, 0, v[7:8]
	v_mov_b32_e32 v20, 0
	v_mov_b32_e32 v21, 0
	s_and_saveexec_b64 s[14:15], vcc
	s_cbranch_execz .LBB49_67
; %bb.66:
	v_div_scale_f64 v[20:21], s[16:17], v[18:19], v[18:19], v[11:12]
	s_mov_b32 s16, 0
	s_brev_b32 s17, 8
	v_mov_b32_e32 v0, 0x100
	v_rcp_f64_e32 v[22:23], v[20:21]
	v_fma_f64 v[26:27], -v[20:21], v[22:23], 1.0
	v_fma_f64 v[22:23], v[22:23], v[26:27], v[22:23]
	v_div_scale_f64 v[26:27], vcc, v[11:12], v[18:19], v[11:12]
	v_fma_f64 v[28:29], -v[20:21], v[22:23], 1.0
	v_fma_f64 v[22:23], v[22:23], v[28:29], v[22:23]
	v_mul_f64 v[28:29], v[26:27], v[22:23]
	v_fma_f64 v[20:21], -v[20:21], v[28:29], v[26:27]
	v_div_fmas_f64 v[20:21], v[20:21], v[22:23], v[28:29]
	v_div_fixup_f64 v[11:12], v[20:21], v[18:19], v[11:12]
	v_fma_f64 v[11:12], v[11:12], v[11:12], 1.0
	v_cmp_gt_f64_e32 vcc, s[16:17], v[11:12]
	v_cndmask_b32_e32 v0, 0, v0, vcc
	v_ldexp_f64 v[11:12], v[11:12], v0
	v_mov_b32_e32 v0, 0xffffff80
	v_cndmask_b32_e32 v0, 0, v0, vcc
	v_rsq_f64_e32 v[20:21], v[11:12]
	v_mul_f64 v[22:23], v[11:12], v[20:21]
	v_mul_f64 v[20:21], v[20:21], 0.5
	v_fma_f64 v[26:27], -v[20:21], v[22:23], 0.5
	v_fma_f64 v[22:23], v[22:23], v[26:27], v[22:23]
	v_fma_f64 v[20:21], v[20:21], v[26:27], v[20:21]
	v_fma_f64 v[26:27], -v[22:23], v[22:23], v[11:12]
	v_fma_f64 v[22:23], v[26:27], v[20:21], v[22:23]
	v_fma_f64 v[26:27], -v[22:23], v[22:23], v[11:12]
	v_fma_f64 v[20:21], v[26:27], v[20:21], v[22:23]
	v_mov_b32_e32 v22, 0x260
	v_cmp_class_f64_e32 vcc, v[11:12], v22
	v_ldexp_f64 v[20:21], v[20:21], v0
	v_cndmask_b32_e32 v12, v21, v12, vcc
	v_cndmask_b32_e32 v11, v20, v11, vcc
	v_mul_f64 v[20:21], v[18:19], v[11:12]
.LBB49_67:
	s_or_b64 exec, exec, s[14:15]
                                        ; implicit-def: $vgpr11_vgpr12
                                        ; implicit-def: $vgpr18_vgpr19
.LBB49_68:
	s_andn2_saveexec_b64 s[8:9], s[8:9]
	s_cbranch_execz .LBB49_70
; %bb.69:
	v_div_scale_f64 v[20:21], s[14:15], v[11:12], v[11:12], v[18:19]
	s_mov_b32 s14, 0
	s_brev_b32 s15, 8
	v_mov_b32_e32 v0, 0x100
	v_rcp_f64_e32 v[22:23], v[20:21]
	v_fma_f64 v[26:27], -v[20:21], v[22:23], 1.0
	v_fma_f64 v[22:23], v[22:23], v[26:27], v[22:23]
	v_div_scale_f64 v[26:27], vcc, v[18:19], v[11:12], v[18:19]
	v_fma_f64 v[28:29], -v[20:21], v[22:23], 1.0
	v_fma_f64 v[22:23], v[22:23], v[28:29], v[22:23]
	v_mul_f64 v[28:29], v[26:27], v[22:23]
	v_fma_f64 v[20:21], -v[20:21], v[28:29], v[26:27]
	v_div_fmas_f64 v[20:21], v[20:21], v[22:23], v[28:29]
	v_div_fixup_f64 v[18:19], v[20:21], v[11:12], v[18:19]
	v_fma_f64 v[18:19], v[18:19], v[18:19], 1.0
	v_cmp_gt_f64_e32 vcc, s[14:15], v[18:19]
	v_cndmask_b32_e32 v0, 0, v0, vcc
	v_ldexp_f64 v[18:19], v[18:19], v0
	v_mov_b32_e32 v0, 0xffffff80
	v_cndmask_b32_e32 v0, 0, v0, vcc
	v_rsq_f64_e32 v[20:21], v[18:19]
	v_mul_f64 v[22:23], v[18:19], v[20:21]
	v_mul_f64 v[20:21], v[20:21], 0.5
	v_fma_f64 v[26:27], -v[20:21], v[22:23], 0.5
	v_fma_f64 v[22:23], v[22:23], v[26:27], v[22:23]
	v_fma_f64 v[20:21], v[20:21], v[26:27], v[20:21]
	v_fma_f64 v[26:27], -v[22:23], v[22:23], v[18:19]
	v_fma_f64 v[22:23], v[26:27], v[20:21], v[22:23]
	v_fma_f64 v[26:27], -v[22:23], v[22:23], v[18:19]
	v_fma_f64 v[20:21], v[26:27], v[20:21], v[22:23]
	v_mov_b32_e32 v22, 0x260
	v_cmp_class_f64_e32 vcc, v[18:19], v22
	v_ldexp_f64 v[20:21], v[20:21], v0
	v_cndmask_b32_e32 v19, v21, v19, vcc
	v_cndmask_b32_e32 v18, v20, v18, vcc
	v_mul_f64 v[20:21], v[11:12], v[18:19]
.LBB49_70:
	s_or_b64 exec, exec, s[8:9]
	v_cmp_eq_u32_e64 s[8:9], 0, v24
	s_and_b64 vcc, exec, s[6:7]
	s_mov_b64 s[6:7], -1
	s_cbranch_vccnz .LBB49_74
; %bb.71:
	v_cvt_f64_f32_e32 v[11:12], v25
	s_cmp_eq_u64 s[36:37], 8
	s_cselect_b64 vcc, -1, 0
	v_cndmask_b32_e32 v12, v12, v16, vcc
	v_cndmask_b32_e32 v11, v11, v15, vcc
	v_cmp_le_f64_e32 vcc, v[20:21], v[11:12]
	s_and_b64 s[14:15], s[8:9], vcc
	s_and_saveexec_b64 s[6:7], s[14:15]
	s_cbranch_execz .LBB49_73
; %bb.72:
	global_store_dwordx4 v[9:10], v[1:4], off
	s_waitcnt vmcnt(0)
	buffer_wbinvl1_vol
.LBB49_73:
	s_or_b64 exec, exec, s[6:7]
	s_mov_b64 s[6:7], 0
.LBB49_74:
	s_andn2_b64 vcc, exec, s[6:7]
	s_cbranch_vccnz .LBB49_85
; %bb.75:
	s_load_dwordx2 s[4:5], s[4:5], 0x48
	v_add_u32_e32 v0, s10, v17
	s_waitcnt lgkmcnt(0)
	v_cmp_ge_f64_e32 vcc, s[4:5], v[20:21]
	s_and_b64 s[6:7], s[8:9], vcc
	s_and_saveexec_b64 s[4:5], s[6:7]
	s_cbranch_execz .LBB49_80
; %bb.76:
	s_mov_b64 s[6:7], exec
	s_brev_b32 s10, -2
.LBB49_77:                              ; =>This Inner Loop Header: Depth=1
	s_ff1_i32_b64 s11, s[6:7]
	v_readlane_b32 s16, v0, s11
	s_lshl_b64 s[14:15], 1, s11
	s_min_i32 s10, s10, s16
	s_andn2_b64 s[6:7], s[6:7], s[14:15]
	s_cmp_lg_u64 s[6:7], 0
	s_cbranch_scc1 .LBB49_77
; %bb.78:
	v_mbcnt_lo_u32_b32 v1, exec_lo, 0
	v_mbcnt_hi_u32_b32 v1, exec_hi, v1
	v_cmp_eq_u32_e32 vcc, 0, v1
	s_and_saveexec_b64 s[6:7], vcc
	s_xor_b64 s[6:7], exec, s[6:7]
	s_cbranch_execz .LBB49_80
; %bb.79:
	v_mov_b32_e32 v1, 0
	v_mov_b32_e32 v2, s10
	global_atomic_smin v1, v2, s[26:27]
.LBB49_80:
	s_or_b64 exec, exec, s[4:5]
	v_cmp_eq_f64_e32 vcc, 0, v[5:6]
	v_cmp_eq_f64_e64 s[4:5], 0, v[7:8]
	s_and_b64 s[4:5], vcc, s[4:5]
	s_and_b64 s[4:5], s[8:9], s[4:5]
	s_and_b64 exec, exec, s[4:5]
	s_cbranch_execz .LBB49_85
; %bb.81:
	s_mov_b64 s[4:5], exec
	s_brev_b32 s6, -2
.LBB49_82:                              ; =>This Inner Loop Header: Depth=1
	s_ff1_i32_b64 s7, s[4:5]
	v_readlane_b32 s10, v0, s7
	s_lshl_b64 s[8:9], 1, s7
	s_min_i32 s6, s6, s10
	s_andn2_b64 s[4:5], s[4:5], s[8:9]
	s_cmp_lg_u64 s[4:5], 0
	s_cbranch_scc1 .LBB49_82
; %bb.83:
	v_mbcnt_lo_u32_b32 v0, exec_lo, 0
	v_mbcnt_hi_u32_b32 v0, exec_hi, v0
	v_cmp_eq_u32_e32 vcc, 0, v0
	s_and_saveexec_b64 s[4:5], vcc
	s_xor_b64 s[4:5], exec, s[4:5]
	s_cbranch_execz .LBB49_85
; %bb.84:
	v_mov_b32_e32 v0, 0
	v_mov_b32_e32 v1, s6
	global_atomic_smin v0, v1, s[24:25]
.LBB49_85:
	s_or_b64 exec, exec, s[12:13]
	v_cmp_eq_u32_e32 vcc, 0, v24
	s_waitcnt vmcnt(0)
	buffer_wbinvl1_vol
	s_and_b64 exec, exec, vcc
	s_cbranch_execz .LBB49_87
; %bb.86:
	v_mov_b32_e32 v1, s21
	v_add_co_u32_e32 v0, vcc, s20, v13
	v_addc_co_u32_e32 v1, vcc, v1, v14, vcc
	v_mov_b32_e32 v2, 1
	global_store_dword v[0:1], v2, off
.LBB49_87:
	s_endpgm
	.section	.rodata,"a",@progbits
	.p2align	6, 0x0
	.amdhsa_kernel _ZN9rocsparseL12csrilu0_hashILj256ELj64ELj8E21rocsparse_complex_numIdEEEviPKiS4_PT2_S4_PiS4_S7_S7_d21rocsparse_index_base_imNS_24const_host_device_scalarIfEENS9_IdEENS9_IS5_EEb
		.amdhsa_group_segment_fixed_size 16384
		.amdhsa_private_segment_fixed_size 16
		.amdhsa_kernarg_size 132
		.amdhsa_user_sgpr_count 8
		.amdhsa_user_sgpr_private_segment_buffer 1
		.amdhsa_user_sgpr_dispatch_ptr 0
		.amdhsa_user_sgpr_queue_ptr 0
		.amdhsa_user_sgpr_kernarg_segment_ptr 1
		.amdhsa_user_sgpr_dispatch_id 0
		.amdhsa_user_sgpr_flat_scratch_init 1
		.amdhsa_user_sgpr_private_segment_size 0
		.amdhsa_uses_dynamic_stack 0
		.amdhsa_system_sgpr_private_segment_wavefront_offset 1
		.amdhsa_system_sgpr_workgroup_id_x 1
		.amdhsa_system_sgpr_workgroup_id_y 0
		.amdhsa_system_sgpr_workgroup_id_z 0
		.amdhsa_system_sgpr_workgroup_info 0
		.amdhsa_system_vgpr_workitem_id 0
		.amdhsa_next_free_vgpr 49
		.amdhsa_next_free_sgpr 96
		.amdhsa_reserve_vcc 1
		.amdhsa_reserve_flat_scratch 1
		.amdhsa_float_round_mode_32 0
		.amdhsa_float_round_mode_16_64 0
		.amdhsa_float_denorm_mode_32 3
		.amdhsa_float_denorm_mode_16_64 3
		.amdhsa_dx10_clamp 1
		.amdhsa_ieee_mode 1
		.amdhsa_fp16_overflow 0
		.amdhsa_exception_fp_ieee_invalid_op 0
		.amdhsa_exception_fp_denorm_src 0
		.amdhsa_exception_fp_ieee_div_zero 0
		.amdhsa_exception_fp_ieee_overflow 0
		.amdhsa_exception_fp_ieee_underflow 0
		.amdhsa_exception_fp_ieee_inexact 0
		.amdhsa_exception_int_div_zero 0
	.end_amdhsa_kernel
	.section	.text._ZN9rocsparseL12csrilu0_hashILj256ELj64ELj8E21rocsparse_complex_numIdEEEviPKiS4_PT2_S4_PiS4_S7_S7_d21rocsparse_index_base_imNS_24const_host_device_scalarIfEENS9_IdEENS9_IS5_EEb,"axG",@progbits,_ZN9rocsparseL12csrilu0_hashILj256ELj64ELj8E21rocsparse_complex_numIdEEEviPKiS4_PT2_S4_PiS4_S7_S7_d21rocsparse_index_base_imNS_24const_host_device_scalarIfEENS9_IdEENS9_IS5_EEb,comdat
.Lfunc_end49:
	.size	_ZN9rocsparseL12csrilu0_hashILj256ELj64ELj8E21rocsparse_complex_numIdEEEviPKiS4_PT2_S4_PiS4_S7_S7_d21rocsparse_index_base_imNS_24const_host_device_scalarIfEENS9_IdEENS9_IS5_EEb, .Lfunc_end49-_ZN9rocsparseL12csrilu0_hashILj256ELj64ELj8E21rocsparse_complex_numIdEEEviPKiS4_PT2_S4_PiS4_S7_S7_d21rocsparse_index_base_imNS_24const_host_device_scalarIfEENS9_IdEENS9_IS5_EEb
                                        ; -- End function
	.set _ZN9rocsparseL12csrilu0_hashILj256ELj64ELj8E21rocsparse_complex_numIdEEEviPKiS4_PT2_S4_PiS4_S7_S7_d21rocsparse_index_base_imNS_24const_host_device_scalarIfEENS9_IdEENS9_IS5_EEb.num_vgpr, 44
	.set _ZN9rocsparseL12csrilu0_hashILj256ELj64ELj8E21rocsparse_complex_numIdEEEviPKiS4_PT2_S4_PiS4_S7_S7_d21rocsparse_index_base_imNS_24const_host_device_scalarIfEENS9_IdEENS9_IS5_EEb.num_agpr, 0
	.set _ZN9rocsparseL12csrilu0_hashILj256ELj64ELj8E21rocsparse_complex_numIdEEEviPKiS4_PT2_S4_PiS4_S7_S7_d21rocsparse_index_base_imNS_24const_host_device_scalarIfEENS9_IdEENS9_IS5_EEb.numbered_sgpr, 66
	.set _ZN9rocsparseL12csrilu0_hashILj256ELj64ELj8E21rocsparse_complex_numIdEEEviPKiS4_PT2_S4_PiS4_S7_S7_d21rocsparse_index_base_imNS_24const_host_device_scalarIfEENS9_IdEENS9_IS5_EEb.num_named_barrier, 0
	.set _ZN9rocsparseL12csrilu0_hashILj256ELj64ELj8E21rocsparse_complex_numIdEEEviPKiS4_PT2_S4_PiS4_S7_S7_d21rocsparse_index_base_imNS_24const_host_device_scalarIfEENS9_IdEENS9_IS5_EEb.private_seg_size, 16
	.set _ZN9rocsparseL12csrilu0_hashILj256ELj64ELj8E21rocsparse_complex_numIdEEEviPKiS4_PT2_S4_PiS4_S7_S7_d21rocsparse_index_base_imNS_24const_host_device_scalarIfEENS9_IdEENS9_IS5_EEb.uses_vcc, 1
	.set _ZN9rocsparseL12csrilu0_hashILj256ELj64ELj8E21rocsparse_complex_numIdEEEviPKiS4_PT2_S4_PiS4_S7_S7_d21rocsparse_index_base_imNS_24const_host_device_scalarIfEENS9_IdEENS9_IS5_EEb.uses_flat_scratch, 1
	.set _ZN9rocsparseL12csrilu0_hashILj256ELj64ELj8E21rocsparse_complex_numIdEEEviPKiS4_PT2_S4_PiS4_S7_S7_d21rocsparse_index_base_imNS_24const_host_device_scalarIfEENS9_IdEENS9_IS5_EEb.has_dyn_sized_stack, 0
	.set _ZN9rocsparseL12csrilu0_hashILj256ELj64ELj8E21rocsparse_complex_numIdEEEviPKiS4_PT2_S4_PiS4_S7_S7_d21rocsparse_index_base_imNS_24const_host_device_scalarIfEENS9_IdEENS9_IS5_EEb.has_recursion, 0
	.set _ZN9rocsparseL12csrilu0_hashILj256ELj64ELj8E21rocsparse_complex_numIdEEEviPKiS4_PT2_S4_PiS4_S7_S7_d21rocsparse_index_base_imNS_24const_host_device_scalarIfEENS9_IdEENS9_IS5_EEb.has_indirect_call, 0
	.section	.AMDGPU.csdata,"",@progbits
; Kernel info:
; codeLenInByte = 3384
; TotalNumSgprs: 72
; NumVgprs: 44
; ScratchSize: 16
; MemoryBound: 0
; FloatMode: 240
; IeeeMode: 1
; LDSByteSize: 16384 bytes/workgroup (compile time only)
; SGPRBlocks: 12
; VGPRBlocks: 12
; NumSGPRsForWavesPerEU: 102
; NumVGPRsForWavesPerEU: 49
; Occupancy: 4
; WaveLimiterHint : 1
; COMPUTE_PGM_RSRC2:SCRATCH_EN: 1
; COMPUTE_PGM_RSRC2:USER_SGPR: 8
; COMPUTE_PGM_RSRC2:TRAP_HANDLER: 0
; COMPUTE_PGM_RSRC2:TGID_X_EN: 1
; COMPUTE_PGM_RSRC2:TGID_Y_EN: 0
; COMPUTE_PGM_RSRC2:TGID_Z_EN: 0
; COMPUTE_PGM_RSRC2:TIDIG_COMP_CNT: 0
	.section	.text._ZN9rocsparseL12csrilu0_hashILj256ELj64ELj16E21rocsparse_complex_numIdEEEviPKiS4_PT2_S4_PiS4_S7_S7_d21rocsparse_index_base_imNS_24const_host_device_scalarIfEENS9_IdEENS9_IS5_EEb,"axG",@progbits,_ZN9rocsparseL12csrilu0_hashILj256ELj64ELj16E21rocsparse_complex_numIdEEEviPKiS4_PT2_S4_PiS4_S7_S7_d21rocsparse_index_base_imNS_24const_host_device_scalarIfEENS9_IdEENS9_IS5_EEb,comdat
	.globl	_ZN9rocsparseL12csrilu0_hashILj256ELj64ELj16E21rocsparse_complex_numIdEEEviPKiS4_PT2_S4_PiS4_S7_S7_d21rocsparse_index_base_imNS_24const_host_device_scalarIfEENS9_IdEENS9_IS5_EEb ; -- Begin function _ZN9rocsparseL12csrilu0_hashILj256ELj64ELj16E21rocsparse_complex_numIdEEEviPKiS4_PT2_S4_PiS4_S7_S7_d21rocsparse_index_base_imNS_24const_host_device_scalarIfEENS9_IdEENS9_IS5_EEb
	.p2align	8
	.type	_ZN9rocsparseL12csrilu0_hashILj256ELj64ELj16E21rocsparse_complex_numIdEEEviPKiS4_PT2_S4_PiS4_S7_S7_d21rocsparse_index_base_imNS_24const_host_device_scalarIfEENS9_IdEENS9_IS5_EEb,@function
_ZN9rocsparseL12csrilu0_hashILj256ELj64ELj16E21rocsparse_complex_numIdEEEviPKiS4_PT2_S4_PiS4_S7_S7_d21rocsparse_index_base_imNS_24const_host_device_scalarIfEENS9_IdEENS9_IS5_EEb: ; @_ZN9rocsparseL12csrilu0_hashILj256ELj64ELj16E21rocsparse_complex_numIdEEEviPKiS4_PT2_S4_PiS4_S7_S7_d21rocsparse_index_base_imNS_24const_host_device_scalarIfEENS9_IdEENS9_IS5_EEb
; %bb.0:
	s_add_u32 flat_scratch_lo, s6, s9
	s_load_dword s6, s[4:5], 0x80
	s_load_dwordx8 s[36:43], s[4:5], 0x58
	s_load_dwordx2 s[12:13], s[4:5], 0x78
	s_load_dwordx2 s[10:11], s[4:5], 0x50
	s_addc_u32 flat_scratch_hi, s7, 0
	s_add_u32 s0, s0, s9
	s_addc_u32 s1, s1, 0
	s_waitcnt lgkmcnt(0)
	s_bitcmp1_b32 s6, 0
	s_cselect_b64 s[14:15], -1, 0
	s_cmp_eq_u32 s11, 0
	s_cselect_b64 s[20:21], -1, 0
	s_cmp_lg_u32 s11, 0
	s_cselect_b64 s[16:17], -1, 0
	s_or_b64 s[22:23], s[20:21], s[14:15]
	s_xor_b64 s[6:7], s[22:23], -1
	v_mov_b32_e32 v1, s43
	s_and_b64 s[18:19], s[20:21], exec
	buffer_store_dword v1, off, s[0:3], 0 offset:4
	v_mov_b32_e32 v1, s42
	s_cselect_b32 s19, 0, s41
	s_cselect_b32 s18, 0, s40
	s_and_b64 vcc, exec, s[22:23]
	buffer_store_dword v1, off, s[0:3], 0
	s_cbranch_vccnz .LBB50_2
; %bb.1:
	s_load_dword s9, s[38:39], 0x0
	s_mov_b64 s[18:19], s[40:41]
	s_waitcnt lgkmcnt(0)
	v_mov_b32_e32 v25, s9
	v_mov_b32_e32 v15, s18
	s_andn2_b64 vcc, exec, s[6:7]
	v_mov_b32_e32 v16, s19
	s_cbranch_vccz .LBB50_3
	s_branch .LBB50_4
.LBB50_2:
	v_mov_b32_e32 v1, s38
	v_cndmask_b32_e64 v25, v1, 0, s[20:21]
	v_mov_b32_e32 v15, s18
	s_andn2_b64 vcc, exec, s[6:7]
	v_mov_b32_e32 v16, s19
	s_cbranch_vccnz .LBB50_4
.LBB50_3:
	v_mov_b32_e32 v1, s40
	v_mov_b32_e32 v2, s41
	flat_load_dwordx2 v[15:16], v[1:2]
.LBB50_4:
	v_cndmask_b32_e64 v1, 0, 1, s[16:17]
	v_mov_b32_e32 v3, 0
	v_cmp_ne_u32_e64 s[6:7], 1, v1
	v_mov_b32_e32 v1, 0
	v_mov_b32_e32 v4, 0
	s_andn2_b64 vcc, exec, s[16:17]
	v_mov_b32_e32 v2, 0
	s_cbranch_vccnz .LBB50_7
; %bb.5:
	s_xor_b64 s[18:19], s[14:15], -1
	s_mov_b64 s[16:17], src_private_base
	s_and_b64 s[14:15], s[14:15], exec
	s_cselect_b32 s9, s17, s43
	s_cselect_b32 s11, 0, s42
	v_mov_b32_e32 v1, s11
	v_mov_b32_e32 v2, s9
	flat_load_dwordx2 v[1:2], v[1:2]
	v_mov_b32_e32 v3, s12
	s_andn2_b64 vcc, exec, s[18:19]
	v_mov_b32_e32 v4, s13
	s_cbranch_vccnz .LBB50_7
; %bb.6:
	v_mov_b32_e32 v3, s42
	v_mov_b32_e32 v4, s43
	flat_load_dwordx2 v[3:4], v[3:4] offset:8
.LBB50_7:
	v_and_b32_e32 v24, 63, v0
	v_lshrrev_b32_e32 v5, 6, v0
	v_lshlrev_b32_e32 v7, 12, v5
	v_lshlrev_b32_e32 v8, 2, v24
	s_movk_i32 s9, 0x4000
	v_or_b32_e32 v6, 0xffffffc0, v24
	v_or3_b32 v7, v7, v8, s9
	s_mov_b64 s[12:13], 0
	v_mov_b32_e32 v8, -1
	s_movk_i32 s9, 0x3bf
.LBB50_8:                               ; =>This Inner Loop Header: Depth=1
	v_add_u32_e32 v6, 64, v6
	v_cmp_lt_u32_e32 vcc, s9, v6
	ds_write_b32 v7, v8
	s_or_b64 s[12:13], vcc, s[12:13]
	v_add_u32_e32 v7, 0x100, v7
	s_andn2_b64 exec, exec, s[12:13]
	s_cbranch_execnz .LBB50_8
; %bb.9:
	s_or_b64 exec, exec, s[12:13]
	s_load_dword s9, s[4:5], 0x0
	s_lshl_b32 s8, s8, 2
	s_and_b32 s8, s8, 0x3fffffc
	v_or_b32_e32 v5, s8, v5
	s_waitcnt lgkmcnt(0)
	v_cmp_gt_i32_e32 vcc, s9, v5
	s_and_saveexec_b64 s[8:9], vcc
	s_cbranch_execz .LBB50_87
; %bb.10:
	s_load_dwordx16 s[12:27], s[4:5], 0x8
	v_lshlrev_b32_e32 v5, 2, v5
	v_lshlrev_b32_e32 v0, 6, v0
	v_and_b32_e32 v0, 0x3000, v0
	v_or_b32_e32 v26, 0x4000, v0
	s_waitcnt lgkmcnt(0)
	global_load_dword v17, v5, s[22:23]
	v_mov_b32_e32 v6, s13
	v_mov_b32_e32 v8, s19
	s_waitcnt vmcnt(0)
	v_ashrrev_i32_e32 v18, 31, v17
	v_lshlrev_b64 v[13:14], 2, v[17:18]
	v_add_co_u32_e32 v5, vcc, s12, v13
	v_addc_co_u32_e32 v6, vcc, v6, v14, vcc
	global_load_dwordx2 v[5:6], v[5:6], off
	v_add_co_u32_e32 v7, vcc, s18, v13
	v_addc_co_u32_e32 v8, vcc, v8, v14, vcc
	global_load_dword v18, v[7:8], off
	s_waitcnt vmcnt(1)
	v_subrev_u32_e32 v19, s10, v5
	v_subrev_u32_e32 v7, s10, v6
	v_add_u32_e32 v5, v19, v24
	v_cmp_lt_i32_e32 vcc, v5, v7
	s_and_saveexec_b64 s[8:9], vcc
	s_cbranch_execz .LBB50_33
; %bb.11:
	s_mov_b64 s[22:23], 0
	v_mov_b32_e32 v8, s15
	s_movk_i32 s11, 0x67
	v_mov_b32_e32 v9, -1
	s_branch .LBB50_13
.LBB50_12:                              ;   in Loop: Header=BB50_13 Depth=1
	s_or_b64 exec, exec, s[28:29]
	v_add_u32_e32 v5, 64, v5
	v_cmp_ge_i32_e32 vcc, v5, v7
	s_or_b64 s[22:23], vcc, s[22:23]
	s_andn2_b64 exec, exec, s[22:23]
	s_cbranch_execz .LBB50_33
.LBB50_13:                              ; =>This Loop Header: Depth=1
                                        ;     Child Loop BB50_22 Depth 2
	v_ashrrev_i32_e32 v6, 31, v5
	v_lshlrev_b64 v[10:11], 2, v[5:6]
	s_mov_b64 s[30:31], 0
	v_add_co_u32_e32 v10, vcc, s14, v10
	v_addc_co_u32_e32 v11, vcc, v8, v11, vcc
	global_load_dword v6, v[10:11], off
	v_mov_b32_e32 v10, 0x400
                                        ; implicit-def: $sgpr28_sgpr29
                                        ; implicit-def: $sgpr34_sgpr35
                                        ; implicit-def: $sgpr38_sgpr39
	s_waitcnt vmcnt(0)
	v_mul_lo_u32 v12, v6, s11
	s_branch .LBB50_22
.LBB50_14:                              ;   in Loop: Header=BB50_22 Depth=2
	s_or_b64 exec, exec, s[58:59]
	s_orn2_b64 s[54:55], s[54:55], exec
	s_orn2_b64 s[56:57], s[56:57], exec
.LBB50_15:                              ;   in Loop: Header=BB50_22 Depth=2
	s_or_b64 exec, exec, s[52:53]
	s_and_b64 s[54:55], s[54:55], exec
	s_orn2_b64 s[52:53], s[56:57], exec
.LBB50_16:                              ;   in Loop: Header=BB50_22 Depth=2
	s_or_b64 exec, exec, s[50:51]
	s_orn2_b64 s[54:55], s[54:55], exec
	s_orn2_b64 s[50:51], s[52:53], exec
.LBB50_17:                              ;   in Loop: Header=BB50_22 Depth=2
	s_or_b64 exec, exec, s[48:49]
	s_and_b64 s[52:53], s[54:55], exec
	s_orn2_b64 s[48:49], s[50:51], exec
.LBB50_18:                              ;   in Loop: Header=BB50_22 Depth=2
	s_or_b64 exec, exec, s[46:47]
	s_orn2_b64 s[46:47], s[52:53], exec
	s_orn2_b64 s[48:49], s[48:49], exec
.LBB50_19:                              ;   in Loop: Header=BB50_22 Depth=2
	s_or_b64 exec, exec, s[44:45]
	s_and_b64 s[46:47], s[46:47], exec
	s_orn2_b64 s[44:45], s[48:49], exec
.LBB50_20:                              ;   in Loop: Header=BB50_22 Depth=2
	s_or_b64 exec, exec, s[42:43]
	s_andn2_b64 s[38:39], s[38:39], exec
	s_and_b64 s[42:43], s[46:47], exec
	s_or_b64 s[38:39], s[38:39], s[42:43]
	s_andn2_b64 s[34:35], s[34:35], exec
	s_and_b64 s[42:43], s[44:45], exec
	s_or_b64 s[34:35], s[34:35], s[42:43]
.LBB50_21:                              ;   in Loop: Header=BB50_22 Depth=2
	s_or_b64 exec, exec, s[40:41]
	s_and_b64 s[40:41], exec, s[34:35]
	s_or_b64 s[30:31], s[40:41], s[30:31]
	s_andn2_b64 s[28:29], s[28:29], exec
	s_and_b64 s[40:41], s[38:39], exec
	s_or_b64 s[28:29], s[28:29], s[40:41]
	s_andn2_b64 exec, exec, s[30:31]
	s_cbranch_execz .LBB50_31
.LBB50_22:                              ;   Parent Loop BB50_13 Depth=1
                                        ; =>  This Inner Loop Header: Depth=2
	v_and_b32_e32 v11, 0x3ff, v12
	v_lshl_add_u32 v20, v11, 2, v26
	ds_read_b32 v21, v20
	s_or_b64 s[38:39], s[38:39], exec
	s_or_b64 s[34:35], s[34:35], exec
	s_waitcnt lgkmcnt(0)
	v_cmp_ne_u32_e32 vcc, v21, v6
	s_and_saveexec_b64 s[40:41], vcc
	s_cbranch_execz .LBB50_21
; %bb.23:                               ;   in Loop: Header=BB50_22 Depth=2
	ds_cmpst_rtn_b32 v20, v20, v9, v6
	s_mov_b64 s[44:45], -1
	s_mov_b64 s[46:47], 0
	s_waitcnt lgkmcnt(0)
	v_cmp_ne_u32_e32 vcc, -1, v20
	s_and_saveexec_b64 s[42:43], vcc
	s_cbranch_execz .LBB50_20
; %bb.24:                               ;   in Loop: Header=BB50_22 Depth=2
	v_add_u32_e32 v11, 1, v12
	v_and_b32_e32 v11, 0x3ff, v11
	v_lshl_add_u32 v20, v11, 2, v26
	ds_read_b32 v21, v20
	s_mov_b64 s[48:49], -1
	s_mov_b64 s[46:47], -1
	s_waitcnt lgkmcnt(0)
	v_cmp_ne_u32_e32 vcc, v21, v6
	s_and_saveexec_b64 s[44:45], vcc
	s_cbranch_execz .LBB50_19
; %bb.25:                               ;   in Loop: Header=BB50_22 Depth=2
	ds_cmpst_rtn_b32 v20, v20, v9, v6
	s_mov_b64 s[52:53], 0
	s_waitcnt lgkmcnt(0)
	v_cmp_ne_u32_e32 vcc, -1, v20
	s_and_saveexec_b64 s[46:47], vcc
	s_cbranch_execz .LBB50_18
; %bb.26:                               ;   in Loop: Header=BB50_22 Depth=2
	v_add_u32_e32 v11, 2, v12
	v_and_b32_e32 v11, 0x3ff, v11
	v_lshl_add_u32 v20, v11, 2, v26
	ds_read_b32 v21, v20
	s_mov_b64 s[50:51], -1
	s_mov_b64 s[54:55], -1
	s_waitcnt lgkmcnt(0)
	v_cmp_ne_u32_e32 vcc, v21, v6
	s_and_saveexec_b64 s[48:49], vcc
	s_cbranch_execz .LBB50_17
; %bb.27:                               ;   in Loop: Header=BB50_22 Depth=2
	ds_cmpst_rtn_b32 v20, v20, v9, v6
	s_mov_b64 s[52:53], -1
	s_mov_b64 s[54:55], 0
	s_waitcnt lgkmcnt(0)
	v_cmp_ne_u32_e32 vcc, -1, v20
	s_and_saveexec_b64 s[50:51], vcc
	s_cbranch_execz .LBB50_16
; %bb.28:                               ;   in Loop: Header=BB50_22 Depth=2
	v_add_u32_e32 v11, 3, v12
	v_and_b32_e32 v11, 0x3ff, v11
	v_lshl_add_u32 v20, v11, 2, v26
	ds_read_b32 v12, v20
	s_mov_b64 s[56:57], -1
	s_mov_b64 s[54:55], -1
	s_waitcnt lgkmcnt(0)
	v_cmp_ne_u32_e32 vcc, v12, v6
                                        ; implicit-def: $vgpr12
	s_and_saveexec_b64 s[52:53], vcc
	s_cbranch_execz .LBB50_15
; %bb.29:                               ;   in Loop: Header=BB50_22 Depth=2
	ds_cmpst_rtn_b32 v12, v20, v9, v6
	s_mov_b64 s[54:55], 0
	s_waitcnt lgkmcnt(0)
	v_cmp_ne_u32_e32 vcc, -1, v12
                                        ; implicit-def: $vgpr12
	s_and_saveexec_b64 s[58:59], vcc
	s_cbranch_execz .LBB50_14
; %bb.30:                               ;   in Loop: Header=BB50_22 Depth=2
	v_add_u32_e32 v10, -4, v10
	v_cmp_eq_u32_e32 vcc, 0, v10
	s_mov_b64 s[54:55], exec
	v_add_u32_e32 v12, 1, v11
	s_orn2_b64 s[56:57], vcc, exec
	s_branch .LBB50_14
.LBB50_31:                              ;   in Loop: Header=BB50_13 Depth=1
	s_or_b64 exec, exec, s[30:31]
	s_xor_b64 s[28:29], s[28:29], -1
	s_and_saveexec_b64 s[30:31], s[28:29]
	s_xor_b64 s[28:29], exec, s[30:31]
	s_cbranch_execz .LBB50_12
; %bb.32:                               ;   in Loop: Header=BB50_13 Depth=1
	v_lshl_add_u32 v6, v11, 2, v0
	ds_write_b32 v6, v5
	s_branch .LBB50_12
.LBB50_33:
	s_or_b64 exec, exec, s[8:9]
	s_waitcnt vmcnt(0)
	v_cmp_lt_i32_e32 vcc, v19, v18
	s_waitcnt lgkmcnt(0)
	s_and_saveexec_b64 s[22:23], vcc
	s_cbranch_execz .LBB50_63
; %bb.34:
	v_add_u32_e32 v27, 1, v24
	s_mov_b64 s[28:29], 0
	v_mov_b32_e32 v28, s15
	v_mov_b32_e32 v29, s17
	;; [unrolled: 1-line block ×5, first 2 shown]
	s_movk_i32 s11, 0x67
	s_branch .LBB50_37
.LBB50_35:                              ;   in Loop: Header=BB50_37 Depth=1
	s_or_b64 exec, exec, s[30:31]
	v_add_u32_e32 v19, 1, v19
	v_cmp_ge_i32_e32 vcc, v19, v18
	s_orn2_b64 s[30:31], vcc, exec
.LBB50_36:                              ;   in Loop: Header=BB50_37 Depth=1
	s_or_b64 exec, exec, s[8:9]
	s_and_b64 s[8:9], exec, s[30:31]
	s_or_b64 s[28:29], s[8:9], s[28:29]
	s_andn2_b64 exec, exec, s[28:29]
	s_cbranch_execz .LBB50_63
.LBB50_37:                              ; =>This Loop Header: Depth=1
                                        ;     Child Loop BB50_38 Depth 2
                                        ;     Child Loop BB50_43 Depth 2
                                        ;       Child Loop BB50_52 Depth 3
	v_ashrrev_i32_e32 v20, 31, v19
	v_lshlrev_b64 v[5:6], 2, v[19:20]
	s_mov_b64 s[8:9], 0
	v_add_co_u32_e32 v5, vcc, s14, v5
	v_addc_co_u32_e32 v6, vcc, v28, v6, vcc
	global_load_dword v9, v[5:6], off
	v_lshlrev_b64 v[5:6], 4, v[19:20]
	v_add_co_u32_e32 v20, vcc, s16, v5
	v_addc_co_u32_e32 v21, vcc, v29, v6, vcc
	global_load_dwordx4 v[5:8], v[20:21], off
	s_waitcnt vmcnt(1)
	v_subrev_u32_e32 v9, s10, v9
	v_ashrrev_i32_e32 v10, 31, v9
	v_lshlrev_b64 v[9:10], 2, v[9:10]
	v_add_co_u32_e32 v22, vcc, s12, v9
	v_addc_co_u32_e32 v23, vcc, v30, v10, vcc
	v_add_co_u32_e32 v33, vcc, s18, v9
	v_addc_co_u32_e32 v34, vcc, v31, v10, vcc
	global_load_dword v11, v[22:23], off offset:4
	global_load_dword v12, v[33:34], off
	v_add_co_u32_e32 v9, vcc, s20, v9
	v_addc_co_u32_e32 v10, vcc, v32, v10, vcc
.LBB50_38:                              ;   Parent Loop BB50_37 Depth=1
                                        ; =>  This Inner Loop Header: Depth=2
	global_load_dword v22, v[9:10], off glc
	s_waitcnt vmcnt(0)
	v_cmp_ne_u32_e32 vcc, 0, v22
	s_or_b64 s[8:9], vcc, s[8:9]
	s_andn2_b64 exec, exec, s[8:9]
	s_cbranch_execnz .LBB50_38
; %bb.39:                               ;   in Loop: Header=BB50_37 Depth=1
	s_or_b64 exec, exec, s[8:9]
	v_subrev_u32_e32 v33, s10, v11
	v_add_u32_e32 v9, -1, v33
	v_cmp_eq_u32_e32 vcc, -1, v12
	v_cndmask_b32_e32 v22, v12, v9, vcc
	v_ashrrev_i32_e32 v23, 31, v22
	v_lshlrev_b64 v[9:10], 4, v[22:23]
	buffer_wbinvl1_vol
	v_add_co_u32_e32 v9, vcc, s16, v9
	v_addc_co_u32_e32 v10, vcc, v29, v10, vcc
	global_load_dwordx4 v[9:12], v[9:10], off
	s_mov_b64 s[30:31], -1
	s_waitcnt vmcnt(0)
	v_cmp_neq_f64_e32 vcc, 0, v[9:10]
	v_cmp_neq_f64_e64 s[8:9], 0, v[11:12]
	s_or_b64 s[34:35], vcc, s[8:9]
	s_and_saveexec_b64 s[8:9], s[34:35]
	s_cbranch_execz .LBB50_36
; %bb.40:                               ;   in Loop: Header=BB50_37 Depth=1
	v_mul_f64 v[34:35], v[11:12], v[11:12]
	v_fma_f64 v[34:35], v[9:10], v[9:10], v[34:35]
	v_div_scale_f64 v[36:37], s[30:31], v[34:35], v[34:35], 1.0
	v_rcp_f64_e32 v[38:39], v[36:37]
	v_fma_f64 v[40:41], -v[36:37], v[38:39], 1.0
	v_fma_f64 v[38:39], v[38:39], v[40:41], v[38:39]
	v_div_scale_f64 v[40:41], vcc, 1.0, v[34:35], 1.0
	v_fma_f64 v[42:43], -v[36:37], v[38:39], 1.0
	v_fma_f64 v[38:39], v[38:39], v[42:43], v[38:39]
	v_mul_f64 v[42:43], v[40:41], v[38:39]
	v_fma_f64 v[36:37], -v[36:37], v[42:43], v[40:41]
	v_div_fmas_f64 v[36:37], v[36:37], v[38:39], v[42:43]
	v_mul_f64 v[38:39], v[7:8], v[11:12]
	v_mul_f64 v[11:12], v[11:12], -v[5:6]
	v_fma_f64 v[5:6], v[5:6], v[9:10], v[38:39]
	v_fma_f64 v[7:8], v[7:8], v[9:10], v[11:12]
	v_add_u32_e32 v9, v27, v22
	v_cmp_lt_i32_e32 vcc, v9, v33
	v_div_fixup_f64 v[34:35], v[36:37], v[34:35], 1.0
	v_mul_f64 v[5:6], v[5:6], v[34:35]
	v_mul_f64 v[7:8], v[7:8], v[34:35]
	global_store_dwordx4 v[20:21], v[5:8], off
	s_and_saveexec_b64 s[30:31], vcc
	s_cbranch_execz .LBB50_35
; %bb.41:                               ;   in Loop: Header=BB50_37 Depth=1
	s_mov_b64 s[34:35], 0
	s_branch .LBB50_43
.LBB50_42:                              ;   in Loop: Header=BB50_43 Depth=2
	s_or_b64 exec, exec, s[38:39]
	v_add_u32_e32 v9, 64, v9
	v_cmp_ge_i32_e32 vcc, v9, v33
	s_or_b64 s[34:35], vcc, s[34:35]
	s_andn2_b64 exec, exec, s[34:35]
	s_cbranch_execz .LBB50_35
.LBB50_43:                              ;   Parent Loop BB50_37 Depth=1
                                        ; =>  This Loop Header: Depth=2
                                        ;       Child Loop BB50_52 Depth 3
	v_ashrrev_i32_e32 v10, 31, v9
	v_lshlrev_b64 v[11:12], 2, v[9:10]
	s_mov_b64 s[40:41], 0
	v_add_co_u32_e32 v11, vcc, s14, v11
	v_addc_co_u32_e32 v12, vcc, v28, v12, vcc
	global_load_dword v11, v[11:12], off
	v_mov_b32_e32 v12, 0x400
                                        ; implicit-def: $sgpr38_sgpr39
                                        ; implicit-def: $sgpr42_sgpr43
                                        ; implicit-def: $sgpr44_sgpr45
	s_waitcnt vmcnt(0)
	v_mul_lo_u32 v21, v11, s11
	s_branch .LBB50_52
.LBB50_44:                              ;   in Loop: Header=BB50_52 Depth=3
	s_or_b64 exec, exec, s[64:65]
	s_orn2_b64 s[60:61], s[60:61], exec
	s_orn2_b64 s[62:63], s[62:63], exec
.LBB50_45:                              ;   in Loop: Header=BB50_52 Depth=3
	s_or_b64 exec, exec, s[58:59]
	s_and_b64 s[60:61], s[60:61], exec
	s_orn2_b64 s[58:59], s[62:63], exec
.LBB50_46:                              ;   in Loop: Header=BB50_52 Depth=3
	s_or_b64 exec, exec, s[56:57]
	s_orn2_b64 s[60:61], s[60:61], exec
	s_orn2_b64 s[56:57], s[58:59], exec
.LBB50_47:                              ;   in Loop: Header=BB50_52 Depth=3
	s_or_b64 exec, exec, s[54:55]
	s_and_b64 s[58:59], s[60:61], exec
	s_orn2_b64 s[54:55], s[56:57], exec
.LBB50_48:                              ;   in Loop: Header=BB50_52 Depth=3
	s_or_b64 exec, exec, s[52:53]
	s_orn2_b64 s[52:53], s[58:59], exec
	s_orn2_b64 s[54:55], s[54:55], exec
.LBB50_49:                              ;   in Loop: Header=BB50_52 Depth=3
	s_or_b64 exec, exec, s[50:51]
	s_and_b64 s[52:53], s[52:53], exec
	s_orn2_b64 s[50:51], s[54:55], exec
.LBB50_50:                              ;   in Loop: Header=BB50_52 Depth=3
	s_or_b64 exec, exec, s[48:49]
	s_andn2_b64 s[44:45], s[44:45], exec
	s_and_b64 s[48:49], s[52:53], exec
	s_or_b64 s[44:45], s[44:45], s[48:49]
	s_andn2_b64 s[42:43], s[42:43], exec
	s_and_b64 s[48:49], s[50:51], exec
	s_or_b64 s[42:43], s[42:43], s[48:49]
.LBB50_51:                              ;   in Loop: Header=BB50_52 Depth=3
	s_or_b64 exec, exec, s[46:47]
	s_and_b64 s[46:47], exec, s[42:43]
	s_or_b64 s[40:41], s[46:47], s[40:41]
	s_andn2_b64 s[38:39], s[38:39], exec
	s_and_b64 s[46:47], s[44:45], exec
	s_or_b64 s[38:39], s[38:39], s[46:47]
	s_andn2_b64 exec, exec, s[40:41]
	s_cbranch_execz .LBB50_61
.LBB50_52:                              ;   Parent Loop BB50_37 Depth=1
                                        ;     Parent Loop BB50_43 Depth=2
                                        ; =>    This Inner Loop Header: Depth=3
	v_and_b32_e32 v20, 0x3ff, v21
	v_lshl_add_u32 v22, v20, 2, v26
	ds_read_b32 v22, v22
	s_or_b64 s[44:45], s[44:45], exec
	s_or_b64 s[42:43], s[42:43], exec
	s_waitcnt lgkmcnt(0)
	v_cmp_ne_u32_e32 vcc, -1, v22
	s_and_saveexec_b64 s[46:47], vcc
	s_cbranch_execz .LBB50_51
; %bb.53:                               ;   in Loop: Header=BB50_52 Depth=3
	v_cmp_ne_u32_e32 vcc, v22, v11
	s_mov_b64 s[50:51], -1
	s_mov_b64 s[52:53], 0
	s_and_saveexec_b64 s[48:49], vcc
	s_cbranch_execz .LBB50_50
; %bb.54:                               ;   in Loop: Header=BB50_52 Depth=3
	v_add_u32_e32 v20, 1, v21
	v_and_b32_e32 v20, 0x3ff, v20
	v_lshl_add_u32 v22, v20, 2, v26
	ds_read_b32 v22, v22
	s_mov_b64 s[54:55], -1
	s_mov_b64 s[52:53], -1
	s_waitcnt lgkmcnt(0)
	v_cmp_ne_u32_e32 vcc, -1, v22
	s_and_saveexec_b64 s[50:51], vcc
	s_cbranch_execz .LBB50_49
; %bb.55:                               ;   in Loop: Header=BB50_52 Depth=3
	v_cmp_ne_u32_e32 vcc, v22, v11
	s_mov_b64 s[58:59], 0
	s_and_saveexec_b64 s[52:53], vcc
	s_cbranch_execz .LBB50_48
; %bb.56:                               ;   in Loop: Header=BB50_52 Depth=3
	v_add_u32_e32 v20, 2, v21
	v_and_b32_e32 v20, 0x3ff, v20
	v_lshl_add_u32 v22, v20, 2, v26
	ds_read_b32 v22, v22
	s_mov_b64 s[56:57], -1
	s_mov_b64 s[60:61], -1
	s_waitcnt lgkmcnt(0)
	v_cmp_ne_u32_e32 vcc, -1, v22
	s_and_saveexec_b64 s[54:55], vcc
	s_cbranch_execz .LBB50_47
; %bb.57:                               ;   in Loop: Header=BB50_52 Depth=3
	v_cmp_ne_u32_e32 vcc, v22, v11
	s_mov_b64 s[58:59], -1
	s_mov_b64 s[60:61], 0
	s_and_saveexec_b64 s[56:57], vcc
	s_cbranch_execz .LBB50_46
; %bb.58:                               ;   in Loop: Header=BB50_52 Depth=3
	v_add_u32_e32 v20, 3, v21
	v_and_b32_e32 v20, 0x3ff, v20
	v_lshl_add_u32 v21, v20, 2, v26
	ds_read_b32 v22, v21
	s_mov_b64 s[62:63], -1
	s_mov_b64 s[60:61], -1
                                        ; implicit-def: $vgpr21
	s_waitcnt lgkmcnt(0)
	v_cmp_ne_u32_e32 vcc, -1, v22
	s_and_saveexec_b64 s[58:59], vcc
	s_cbranch_execz .LBB50_45
; %bb.59:                               ;   in Loop: Header=BB50_52 Depth=3
	v_cmp_ne_u32_e32 vcc, v22, v11
	s_mov_b64 s[60:61], 0
                                        ; implicit-def: $vgpr21
	s_and_saveexec_b64 s[64:65], vcc
	s_cbranch_execz .LBB50_44
; %bb.60:                               ;   in Loop: Header=BB50_52 Depth=3
	v_add_u32_e32 v12, -4, v12
	v_cmp_eq_u32_e32 vcc, 0, v12
	s_mov_b64 s[60:61], exec
	v_add_u32_e32 v21, 1, v20
	s_orn2_b64 s[62:63], vcc, exec
	s_branch .LBB50_44
.LBB50_61:                              ;   in Loop: Header=BB50_43 Depth=2
	s_or_b64 exec, exec, s[40:41]
	s_xor_b64 s[38:39], s[38:39], -1
	s_and_saveexec_b64 s[40:41], s[38:39]
	s_xor_b64 s[38:39], exec, s[40:41]
	s_cbranch_execz .LBB50_42
; %bb.62:                               ;   in Loop: Header=BB50_43 Depth=2
	v_lshl_add_u32 v11, v20, 2, v0
	ds_read_b32 v11, v11
	v_lshlrev_b64 v[20:21], 4, v[9:10]
	v_add_co_u32_e32 v38, vcc, s16, v20
	s_waitcnt lgkmcnt(0)
	v_ashrrev_i32_e32 v12, 31, v11
	v_lshlrev_b64 v[10:11], 4, v[11:12]
	v_addc_co_u32_e32 v39, vcc, v29, v21, vcc
	v_add_co_u32_e32 v10, vcc, s16, v10
	v_addc_co_u32_e32 v11, vcc, v29, v11, vcc
	global_load_dwordx4 v[20:23], v[38:39], off
	global_load_dwordx4 v[34:37], v[10:11], off
	s_waitcnt vmcnt(0)
	v_fma_f64 v[34:35], -v[5:6], v[20:21], v[34:35]
	v_fma_f64 v[36:37], -v[7:8], v[20:21], v[36:37]
	v_fma_f64 v[20:21], v[7:8], v[22:23], v[34:35]
	v_fma_f64 v[22:23], -v[5:6], v[22:23], v[36:37]
	global_store_dwordx4 v[10:11], v[20:23], off
	s_branch .LBB50_42
.LBB50_63:
	s_or_b64 exec, exec, s[22:23]
	v_cmp_lt_i32_e32 vcc, -1, v18
	s_and_saveexec_b64 s[12:13], vcc
	s_cbranch_execz .LBB50_85
; %bb.64:
	v_mov_b32_e32 v19, 0
	v_lshlrev_b64 v[5:6], 4, v[18:19]
	v_mov_b32_e32 v0, s17
	v_add_co_u32_e32 v9, vcc, s16, v5
	v_addc_co_u32_e32 v10, vcc, v0, v6, vcc
	global_load_dwordx4 v[5:8], v[9:10], off
                                        ; implicit-def: $vgpr20_vgpr21
	s_waitcnt vmcnt(0)
	v_cmp_gt_f64_e32 vcc, 0, v[5:6]
	v_xor_b32_e32 v0, 0x80000000, v6
	v_xor_b32_e32 v18, 0x80000000, v8
	v_mov_b32_e32 v11, v5
	v_cndmask_b32_e32 v12, v6, v0, vcc
	v_cmp_gt_f64_e32 vcc, 0, v[7:8]
	v_cndmask_b32_e32 v19, v8, v18, vcc
	v_mov_b32_e32 v18, v7
	v_cmp_ngt_f64_e32 vcc, v[11:12], v[18:19]
	s_and_saveexec_b64 s[8:9], vcc
	s_xor_b64 s[8:9], exec, s[8:9]
	s_cbranch_execz .LBB50_68
; %bb.65:
	v_cmp_neq_f64_e32 vcc, 0, v[7:8]
	v_mov_b32_e32 v20, 0
	v_mov_b32_e32 v21, 0
	s_and_saveexec_b64 s[14:15], vcc
	s_cbranch_execz .LBB50_67
; %bb.66:
	v_div_scale_f64 v[20:21], s[16:17], v[18:19], v[18:19], v[11:12]
	s_mov_b32 s16, 0
	s_brev_b32 s17, 8
	v_mov_b32_e32 v0, 0x100
	v_rcp_f64_e32 v[22:23], v[20:21]
	v_fma_f64 v[26:27], -v[20:21], v[22:23], 1.0
	v_fma_f64 v[22:23], v[22:23], v[26:27], v[22:23]
	v_div_scale_f64 v[26:27], vcc, v[11:12], v[18:19], v[11:12]
	v_fma_f64 v[28:29], -v[20:21], v[22:23], 1.0
	v_fma_f64 v[22:23], v[22:23], v[28:29], v[22:23]
	v_mul_f64 v[28:29], v[26:27], v[22:23]
	v_fma_f64 v[20:21], -v[20:21], v[28:29], v[26:27]
	v_div_fmas_f64 v[20:21], v[20:21], v[22:23], v[28:29]
	v_div_fixup_f64 v[11:12], v[20:21], v[18:19], v[11:12]
	v_fma_f64 v[11:12], v[11:12], v[11:12], 1.0
	v_cmp_gt_f64_e32 vcc, s[16:17], v[11:12]
	v_cndmask_b32_e32 v0, 0, v0, vcc
	v_ldexp_f64 v[11:12], v[11:12], v0
	v_mov_b32_e32 v0, 0xffffff80
	v_cndmask_b32_e32 v0, 0, v0, vcc
	v_rsq_f64_e32 v[20:21], v[11:12]
	v_mul_f64 v[22:23], v[11:12], v[20:21]
	v_mul_f64 v[20:21], v[20:21], 0.5
	v_fma_f64 v[26:27], -v[20:21], v[22:23], 0.5
	v_fma_f64 v[22:23], v[22:23], v[26:27], v[22:23]
	v_fma_f64 v[20:21], v[20:21], v[26:27], v[20:21]
	v_fma_f64 v[26:27], -v[22:23], v[22:23], v[11:12]
	v_fma_f64 v[22:23], v[26:27], v[20:21], v[22:23]
	v_fma_f64 v[26:27], -v[22:23], v[22:23], v[11:12]
	v_fma_f64 v[20:21], v[26:27], v[20:21], v[22:23]
	v_mov_b32_e32 v22, 0x260
	v_cmp_class_f64_e32 vcc, v[11:12], v22
	v_ldexp_f64 v[20:21], v[20:21], v0
	v_cndmask_b32_e32 v12, v21, v12, vcc
	v_cndmask_b32_e32 v11, v20, v11, vcc
	v_mul_f64 v[20:21], v[18:19], v[11:12]
.LBB50_67:
	s_or_b64 exec, exec, s[14:15]
                                        ; implicit-def: $vgpr11_vgpr12
                                        ; implicit-def: $vgpr18_vgpr19
.LBB50_68:
	s_andn2_saveexec_b64 s[8:9], s[8:9]
	s_cbranch_execz .LBB50_70
; %bb.69:
	v_div_scale_f64 v[20:21], s[14:15], v[11:12], v[11:12], v[18:19]
	s_mov_b32 s14, 0
	s_brev_b32 s15, 8
	v_mov_b32_e32 v0, 0x100
	v_rcp_f64_e32 v[22:23], v[20:21]
	v_fma_f64 v[26:27], -v[20:21], v[22:23], 1.0
	v_fma_f64 v[22:23], v[22:23], v[26:27], v[22:23]
	v_div_scale_f64 v[26:27], vcc, v[18:19], v[11:12], v[18:19]
	v_fma_f64 v[28:29], -v[20:21], v[22:23], 1.0
	v_fma_f64 v[22:23], v[22:23], v[28:29], v[22:23]
	v_mul_f64 v[28:29], v[26:27], v[22:23]
	v_fma_f64 v[20:21], -v[20:21], v[28:29], v[26:27]
	v_div_fmas_f64 v[20:21], v[20:21], v[22:23], v[28:29]
	v_div_fixup_f64 v[18:19], v[20:21], v[11:12], v[18:19]
	v_fma_f64 v[18:19], v[18:19], v[18:19], 1.0
	v_cmp_gt_f64_e32 vcc, s[14:15], v[18:19]
	v_cndmask_b32_e32 v0, 0, v0, vcc
	v_ldexp_f64 v[18:19], v[18:19], v0
	v_mov_b32_e32 v0, 0xffffff80
	v_cndmask_b32_e32 v0, 0, v0, vcc
	v_rsq_f64_e32 v[20:21], v[18:19]
	v_mul_f64 v[22:23], v[18:19], v[20:21]
	v_mul_f64 v[20:21], v[20:21], 0.5
	v_fma_f64 v[26:27], -v[20:21], v[22:23], 0.5
	v_fma_f64 v[22:23], v[22:23], v[26:27], v[22:23]
	v_fma_f64 v[20:21], v[20:21], v[26:27], v[20:21]
	v_fma_f64 v[26:27], -v[22:23], v[22:23], v[18:19]
	v_fma_f64 v[22:23], v[26:27], v[20:21], v[22:23]
	v_fma_f64 v[26:27], -v[22:23], v[22:23], v[18:19]
	v_fma_f64 v[20:21], v[26:27], v[20:21], v[22:23]
	v_mov_b32_e32 v22, 0x260
	v_cmp_class_f64_e32 vcc, v[18:19], v22
	v_ldexp_f64 v[20:21], v[20:21], v0
	v_cndmask_b32_e32 v19, v21, v19, vcc
	v_cndmask_b32_e32 v18, v20, v18, vcc
	v_mul_f64 v[20:21], v[11:12], v[18:19]
.LBB50_70:
	s_or_b64 exec, exec, s[8:9]
	v_cmp_eq_u32_e64 s[8:9], 0, v24
	s_and_b64 vcc, exec, s[6:7]
	s_mov_b64 s[6:7], -1
	s_cbranch_vccnz .LBB50_74
; %bb.71:
	v_cvt_f64_f32_e32 v[11:12], v25
	s_cmp_eq_u64 s[36:37], 8
	s_cselect_b64 vcc, -1, 0
	v_cndmask_b32_e32 v12, v12, v16, vcc
	v_cndmask_b32_e32 v11, v11, v15, vcc
	v_cmp_le_f64_e32 vcc, v[20:21], v[11:12]
	s_and_b64 s[14:15], s[8:9], vcc
	s_and_saveexec_b64 s[6:7], s[14:15]
	s_cbranch_execz .LBB50_73
; %bb.72:
	global_store_dwordx4 v[9:10], v[1:4], off
	s_waitcnt vmcnt(0)
	buffer_wbinvl1_vol
.LBB50_73:
	s_or_b64 exec, exec, s[6:7]
	s_mov_b64 s[6:7], 0
.LBB50_74:
	s_andn2_b64 vcc, exec, s[6:7]
	s_cbranch_vccnz .LBB50_85
; %bb.75:
	s_load_dwordx2 s[4:5], s[4:5], 0x48
	v_add_u32_e32 v0, s10, v17
	s_waitcnt lgkmcnt(0)
	v_cmp_ge_f64_e32 vcc, s[4:5], v[20:21]
	s_and_b64 s[6:7], s[8:9], vcc
	s_and_saveexec_b64 s[4:5], s[6:7]
	s_cbranch_execz .LBB50_80
; %bb.76:
	s_mov_b64 s[6:7], exec
	s_brev_b32 s10, -2
.LBB50_77:                              ; =>This Inner Loop Header: Depth=1
	s_ff1_i32_b64 s11, s[6:7]
	v_readlane_b32 s16, v0, s11
	s_lshl_b64 s[14:15], 1, s11
	s_min_i32 s10, s10, s16
	s_andn2_b64 s[6:7], s[6:7], s[14:15]
	s_cmp_lg_u64 s[6:7], 0
	s_cbranch_scc1 .LBB50_77
; %bb.78:
	v_mbcnt_lo_u32_b32 v1, exec_lo, 0
	v_mbcnt_hi_u32_b32 v1, exec_hi, v1
	v_cmp_eq_u32_e32 vcc, 0, v1
	s_and_saveexec_b64 s[6:7], vcc
	s_xor_b64 s[6:7], exec, s[6:7]
	s_cbranch_execz .LBB50_80
; %bb.79:
	v_mov_b32_e32 v1, 0
	v_mov_b32_e32 v2, s10
	global_atomic_smin v1, v2, s[26:27]
.LBB50_80:
	s_or_b64 exec, exec, s[4:5]
	v_cmp_eq_f64_e32 vcc, 0, v[5:6]
	v_cmp_eq_f64_e64 s[4:5], 0, v[7:8]
	s_and_b64 s[4:5], vcc, s[4:5]
	s_and_b64 s[4:5], s[8:9], s[4:5]
	s_and_b64 exec, exec, s[4:5]
	s_cbranch_execz .LBB50_85
; %bb.81:
	s_mov_b64 s[4:5], exec
	s_brev_b32 s6, -2
.LBB50_82:                              ; =>This Inner Loop Header: Depth=1
	s_ff1_i32_b64 s7, s[4:5]
	v_readlane_b32 s10, v0, s7
	s_lshl_b64 s[8:9], 1, s7
	s_min_i32 s6, s6, s10
	s_andn2_b64 s[4:5], s[4:5], s[8:9]
	s_cmp_lg_u64 s[4:5], 0
	s_cbranch_scc1 .LBB50_82
; %bb.83:
	v_mbcnt_lo_u32_b32 v0, exec_lo, 0
	v_mbcnt_hi_u32_b32 v0, exec_hi, v0
	v_cmp_eq_u32_e32 vcc, 0, v0
	s_and_saveexec_b64 s[4:5], vcc
	s_xor_b64 s[4:5], exec, s[4:5]
	s_cbranch_execz .LBB50_85
; %bb.84:
	v_mov_b32_e32 v0, 0
	v_mov_b32_e32 v1, s6
	global_atomic_smin v0, v1, s[24:25]
.LBB50_85:
	s_or_b64 exec, exec, s[12:13]
	v_cmp_eq_u32_e32 vcc, 0, v24
	s_waitcnt vmcnt(0)
	buffer_wbinvl1_vol
	s_and_b64 exec, exec, vcc
	s_cbranch_execz .LBB50_87
; %bb.86:
	v_mov_b32_e32 v1, s21
	v_add_co_u32_e32 v0, vcc, s20, v13
	v_addc_co_u32_e32 v1, vcc, v1, v14, vcc
	v_mov_b32_e32 v2, 1
	global_store_dword v[0:1], v2, off
.LBB50_87:
	s_endpgm
	.section	.rodata,"a",@progbits
	.p2align	6, 0x0
	.amdhsa_kernel _ZN9rocsparseL12csrilu0_hashILj256ELj64ELj16E21rocsparse_complex_numIdEEEviPKiS4_PT2_S4_PiS4_S7_S7_d21rocsparse_index_base_imNS_24const_host_device_scalarIfEENS9_IdEENS9_IS5_EEb
		.amdhsa_group_segment_fixed_size 32768
		.amdhsa_private_segment_fixed_size 16
		.amdhsa_kernarg_size 132
		.amdhsa_user_sgpr_count 8
		.amdhsa_user_sgpr_private_segment_buffer 1
		.amdhsa_user_sgpr_dispatch_ptr 0
		.amdhsa_user_sgpr_queue_ptr 0
		.amdhsa_user_sgpr_kernarg_segment_ptr 1
		.amdhsa_user_sgpr_dispatch_id 0
		.amdhsa_user_sgpr_flat_scratch_init 1
		.amdhsa_user_sgpr_private_segment_size 0
		.amdhsa_uses_dynamic_stack 0
		.amdhsa_system_sgpr_private_segment_wavefront_offset 1
		.amdhsa_system_sgpr_workgroup_id_x 1
		.amdhsa_system_sgpr_workgroup_id_y 0
		.amdhsa_system_sgpr_workgroup_id_z 0
		.amdhsa_system_sgpr_workgroup_info 0
		.amdhsa_system_vgpr_workitem_id 0
		.amdhsa_next_free_vgpr 85
		.amdhsa_next_free_sgpr 96
		.amdhsa_reserve_vcc 1
		.amdhsa_reserve_flat_scratch 1
		.amdhsa_float_round_mode_32 0
		.amdhsa_float_round_mode_16_64 0
		.amdhsa_float_denorm_mode_32 3
		.amdhsa_float_denorm_mode_16_64 3
		.amdhsa_dx10_clamp 1
		.amdhsa_ieee_mode 1
		.amdhsa_fp16_overflow 0
		.amdhsa_exception_fp_ieee_invalid_op 0
		.amdhsa_exception_fp_denorm_src 0
		.amdhsa_exception_fp_ieee_div_zero 0
		.amdhsa_exception_fp_ieee_overflow 0
		.amdhsa_exception_fp_ieee_underflow 0
		.amdhsa_exception_fp_ieee_inexact 0
		.amdhsa_exception_int_div_zero 0
	.end_amdhsa_kernel
	.section	.text._ZN9rocsparseL12csrilu0_hashILj256ELj64ELj16E21rocsparse_complex_numIdEEEviPKiS4_PT2_S4_PiS4_S7_S7_d21rocsparse_index_base_imNS_24const_host_device_scalarIfEENS9_IdEENS9_IS5_EEb,"axG",@progbits,_ZN9rocsparseL12csrilu0_hashILj256ELj64ELj16E21rocsparse_complex_numIdEEEviPKiS4_PT2_S4_PiS4_S7_S7_d21rocsparse_index_base_imNS_24const_host_device_scalarIfEENS9_IdEENS9_IS5_EEb,comdat
.Lfunc_end50:
	.size	_ZN9rocsparseL12csrilu0_hashILj256ELj64ELj16E21rocsparse_complex_numIdEEEviPKiS4_PT2_S4_PiS4_S7_S7_d21rocsparse_index_base_imNS_24const_host_device_scalarIfEENS9_IdEENS9_IS5_EEb, .Lfunc_end50-_ZN9rocsparseL12csrilu0_hashILj256ELj64ELj16E21rocsparse_complex_numIdEEEviPKiS4_PT2_S4_PiS4_S7_S7_d21rocsparse_index_base_imNS_24const_host_device_scalarIfEENS9_IdEENS9_IS5_EEb
                                        ; -- End function
	.set _ZN9rocsparseL12csrilu0_hashILj256ELj64ELj16E21rocsparse_complex_numIdEEEviPKiS4_PT2_S4_PiS4_S7_S7_d21rocsparse_index_base_imNS_24const_host_device_scalarIfEENS9_IdEENS9_IS5_EEb.num_vgpr, 44
	.set _ZN9rocsparseL12csrilu0_hashILj256ELj64ELj16E21rocsparse_complex_numIdEEEviPKiS4_PT2_S4_PiS4_S7_S7_d21rocsparse_index_base_imNS_24const_host_device_scalarIfEENS9_IdEENS9_IS5_EEb.num_agpr, 0
	.set _ZN9rocsparseL12csrilu0_hashILj256ELj64ELj16E21rocsparse_complex_numIdEEEviPKiS4_PT2_S4_PiS4_S7_S7_d21rocsparse_index_base_imNS_24const_host_device_scalarIfEENS9_IdEENS9_IS5_EEb.numbered_sgpr, 66
	.set _ZN9rocsparseL12csrilu0_hashILj256ELj64ELj16E21rocsparse_complex_numIdEEEviPKiS4_PT2_S4_PiS4_S7_S7_d21rocsparse_index_base_imNS_24const_host_device_scalarIfEENS9_IdEENS9_IS5_EEb.num_named_barrier, 0
	.set _ZN9rocsparseL12csrilu0_hashILj256ELj64ELj16E21rocsparse_complex_numIdEEEviPKiS4_PT2_S4_PiS4_S7_S7_d21rocsparse_index_base_imNS_24const_host_device_scalarIfEENS9_IdEENS9_IS5_EEb.private_seg_size, 16
	.set _ZN9rocsparseL12csrilu0_hashILj256ELj64ELj16E21rocsparse_complex_numIdEEEviPKiS4_PT2_S4_PiS4_S7_S7_d21rocsparse_index_base_imNS_24const_host_device_scalarIfEENS9_IdEENS9_IS5_EEb.uses_vcc, 1
	.set _ZN9rocsparseL12csrilu0_hashILj256ELj64ELj16E21rocsparse_complex_numIdEEEviPKiS4_PT2_S4_PiS4_S7_S7_d21rocsparse_index_base_imNS_24const_host_device_scalarIfEENS9_IdEENS9_IS5_EEb.uses_flat_scratch, 1
	.set _ZN9rocsparseL12csrilu0_hashILj256ELj64ELj16E21rocsparse_complex_numIdEEEviPKiS4_PT2_S4_PiS4_S7_S7_d21rocsparse_index_base_imNS_24const_host_device_scalarIfEENS9_IdEENS9_IS5_EEb.has_dyn_sized_stack, 0
	.set _ZN9rocsparseL12csrilu0_hashILj256ELj64ELj16E21rocsparse_complex_numIdEEEviPKiS4_PT2_S4_PiS4_S7_S7_d21rocsparse_index_base_imNS_24const_host_device_scalarIfEENS9_IdEENS9_IS5_EEb.has_recursion, 0
	.set _ZN9rocsparseL12csrilu0_hashILj256ELj64ELj16E21rocsparse_complex_numIdEEEviPKiS4_PT2_S4_PiS4_S7_S7_d21rocsparse_index_base_imNS_24const_host_device_scalarIfEENS9_IdEENS9_IS5_EEb.has_indirect_call, 0
	.section	.AMDGPU.csdata,"",@progbits
; Kernel info:
; codeLenInByte = 3384
; TotalNumSgprs: 72
; NumVgprs: 44
; ScratchSize: 16
; MemoryBound: 0
; FloatMode: 240
; IeeeMode: 1
; LDSByteSize: 32768 bytes/workgroup (compile time only)
; SGPRBlocks: 12
; VGPRBlocks: 21
; NumSGPRsForWavesPerEU: 102
; NumVGPRsForWavesPerEU: 85
; Occupancy: 2
; WaveLimiterHint : 1
; COMPUTE_PGM_RSRC2:SCRATCH_EN: 1
; COMPUTE_PGM_RSRC2:USER_SGPR: 8
; COMPUTE_PGM_RSRC2:TRAP_HANDLER: 0
; COMPUTE_PGM_RSRC2:TGID_X_EN: 1
; COMPUTE_PGM_RSRC2:TGID_Y_EN: 0
; COMPUTE_PGM_RSRC2:TGID_Z_EN: 0
; COMPUTE_PGM_RSRC2:TIDIG_COMP_CNT: 0
	.section	.text._ZN9rocsparseL17csrilu0_binsearchILj256ELj64ELb0E21rocsparse_complex_numIdEEEviPKiS4_PT2_S4_PiS4_S7_S7_d21rocsparse_index_base_imNS_24const_host_device_scalarIfEENS9_IdEENS9_IS5_EEb,"axG",@progbits,_ZN9rocsparseL17csrilu0_binsearchILj256ELj64ELb0E21rocsparse_complex_numIdEEEviPKiS4_PT2_S4_PiS4_S7_S7_d21rocsparse_index_base_imNS_24const_host_device_scalarIfEENS9_IdEENS9_IS5_EEb,comdat
	.globl	_ZN9rocsparseL17csrilu0_binsearchILj256ELj64ELb0E21rocsparse_complex_numIdEEEviPKiS4_PT2_S4_PiS4_S7_S7_d21rocsparse_index_base_imNS_24const_host_device_scalarIfEENS9_IdEENS9_IS5_EEb ; -- Begin function _ZN9rocsparseL17csrilu0_binsearchILj256ELj64ELb0E21rocsparse_complex_numIdEEEviPKiS4_PT2_S4_PiS4_S7_S7_d21rocsparse_index_base_imNS_24const_host_device_scalarIfEENS9_IdEENS9_IS5_EEb
	.p2align	8
	.type	_ZN9rocsparseL17csrilu0_binsearchILj256ELj64ELb0E21rocsparse_complex_numIdEEEviPKiS4_PT2_S4_PiS4_S7_S7_d21rocsparse_index_base_imNS_24const_host_device_scalarIfEENS9_IdEENS9_IS5_EEb,@function
_ZN9rocsparseL17csrilu0_binsearchILj256ELj64ELb0E21rocsparse_complex_numIdEEEviPKiS4_PT2_S4_PiS4_S7_S7_d21rocsparse_index_base_imNS_24const_host_device_scalarIfEENS9_IdEENS9_IS5_EEb: ; @_ZN9rocsparseL17csrilu0_binsearchILj256ELj64ELb0E21rocsparse_complex_numIdEEEviPKiS4_PT2_S4_PiS4_S7_S7_d21rocsparse_index_base_imNS_24const_host_device_scalarIfEENS9_IdEENS9_IS5_EEb
; %bb.0:
	s_add_u32 flat_scratch_lo, s6, s9
	s_load_dword s6, s[4:5], 0x80
	s_load_dwordx8 s[36:43], s[4:5], 0x58
	s_load_dwordx2 s[12:13], s[4:5], 0x78
	s_load_dwordx2 s[10:11], s[4:5], 0x50
	s_addc_u32 flat_scratch_hi, s7, 0
	s_add_u32 s0, s0, s9
	s_addc_u32 s1, s1, 0
	s_waitcnt lgkmcnt(0)
	s_bitcmp1_b32 s6, 0
	s_cselect_b64 s[14:15], -1, 0
	s_cmp_eq_u32 s11, 0
	s_cselect_b64 s[20:21], -1, 0
	s_cmp_lg_u32 s11, 0
	s_cselect_b64 s[16:17], -1, 0
	s_or_b64 s[22:23], s[20:21], s[14:15]
	s_xor_b64 s[6:7], s[22:23], -1
	v_mov_b32_e32 v1, s43
	s_and_b64 s[18:19], s[20:21], exec
	buffer_store_dword v1, off, s[0:3], 0 offset:4
	v_mov_b32_e32 v1, s42
	s_cselect_b32 s19, 0, s41
	s_cselect_b32 s18, 0, s40
	s_and_b64 vcc, exec, s[22:23]
	buffer_store_dword v1, off, s[0:3], 0
	s_cbranch_vccnz .LBB51_2
; %bb.1:
	s_load_dword s9, s[38:39], 0x0
	s_mov_b64 s[18:19], s[40:41]
	s_waitcnt lgkmcnt(0)
	v_mov_b32_e32 v24, s9
	v_mov_b32_e32 v15, s18
	s_andn2_b64 vcc, exec, s[6:7]
	v_mov_b32_e32 v16, s19
	s_cbranch_vccz .LBB51_3
	s_branch .LBB51_4
.LBB51_2:
	v_mov_b32_e32 v1, s38
	v_cndmask_b32_e64 v24, v1, 0, s[20:21]
	v_mov_b32_e32 v15, s18
	s_andn2_b64 vcc, exec, s[6:7]
	v_mov_b32_e32 v16, s19
	s_cbranch_vccnz .LBB51_4
.LBB51_3:
	v_mov_b32_e32 v1, s40
	v_mov_b32_e32 v2, s41
	flat_load_dwordx2 v[15:16], v[1:2]
.LBB51_4:
	v_cndmask_b32_e64 v3, 0, 1, s[16:17]
	v_mov_b32_e32 v1, 0
	v_cmp_ne_u32_e64 s[6:7], 1, v3
	v_mov_b32_e32 v3, 0
	v_mov_b32_e32 v2, 0
	s_andn2_b64 vcc, exec, s[16:17]
	v_mov_b32_e32 v4, 0
	s_cbranch_vccnz .LBB51_7
; %bb.5:
	s_xor_b64 s[18:19], s[14:15], -1
	s_mov_b64 s[16:17], src_private_base
	s_and_b64 s[14:15], s[14:15], exec
	s_cselect_b32 s9, s17, s43
	s_cselect_b32 s11, 0, s42
	v_mov_b32_e32 v1, s11
	v_mov_b32_e32 v2, s9
	flat_load_dwordx2 v[1:2], v[1:2]
	v_mov_b32_e32 v3, s12
	s_andn2_b64 vcc, exec, s[18:19]
	v_mov_b32_e32 v4, s13
	s_cbranch_vccnz .LBB51_7
; %bb.6:
	v_mov_b32_e32 v3, s42
	v_mov_b32_e32 v4, s43
	flat_load_dwordx2 v[3:4], v[3:4] offset:8
.LBB51_7:
	s_load_dword s9, s[4:5], 0x0
	s_lshl_b32 s8, s8, 2
	v_lshrrev_b32_e32 v5, 6, v0
	s_and_b32 s8, s8, 0x3fffffc
	v_or_b32_e32 v5, s8, v5
	s_waitcnt lgkmcnt(0)
	v_cmp_gt_i32_e32 vcc, s9, v5
	s_and_saveexec_b64 s[8:9], vcc
	s_cbranch_execz .LBB51_49
; %bb.8:
	s_load_dwordx16 s[12:27], s[4:5], 0x8
	v_lshlrev_b32_e32 v5, 2, v5
	v_and_b32_e32 v0, 63, v0
	s_waitcnt lgkmcnt(0)
	global_load_dword v17, v5, s[22:23]
	v_mov_b32_e32 v5, s19
	v_mov_b32_e32 v6, s13
	s_waitcnt vmcnt(0)
	v_ashrrev_i32_e32 v18, 31, v17
	v_lshlrev_b64 v[13:14], 2, v[17:18]
	v_add_co_u32_e32 v7, vcc, s18, v13
	v_addc_co_u32_e32 v8, vcc, v5, v14, vcc
	v_add_co_u32_e32 v5, vcc, s12, v13
	v_addc_co_u32_e32 v6, vcc, v6, v14, vcc
	global_load_dword v9, v[5:6], off
	global_load_dword v18, v[7:8], off
	s_waitcnt vmcnt(1)
	v_subrev_u32_e32 v19, s10, v9
	s_waitcnt vmcnt(0)
	v_cmp_lt_i32_e32 vcc, v19, v18
	s_and_saveexec_b64 s[22:23], vcc
	s_cbranch_execz .LBB51_25
; %bb.9:
	global_load_dword v5, v[5:6], off offset:4
	v_add_u32_e32 v25, 1, v0
	s_mov_b64 s[28:29], 0
	v_mov_b32_e32 v26, s15
	v_mov_b32_e32 v27, s17
	;; [unrolled: 1-line block ×5, first 2 shown]
	s_waitcnt vmcnt(0)
	v_xad_u32 v30, s10, -1, v5
	s_branch .LBB51_12
.LBB51_10:                              ;   in Loop: Header=BB51_12 Depth=1
	s_or_b64 exec, exec, s[30:31]
	v_cmp_ge_i32_e32 vcc, v19, v18
	s_orn2_b64 s[30:31], vcc, exec
.LBB51_11:                              ;   in Loop: Header=BB51_12 Depth=1
	s_or_b64 exec, exec, s[8:9]
	s_and_b64 s[8:9], exec, s[30:31]
	s_or_b64 s[28:29], s[8:9], s[28:29]
	s_andn2_b64 exec, exec, s[28:29]
	s_cbranch_execz .LBB51_25
.LBB51_12:                              ; =>This Loop Header: Depth=1
                                        ;     Child Loop BB51_14 Depth 2
                                        ;     Child Loop BB51_19 Depth 2
                                        ;       Child Loop BB51_21 Depth 3
	v_ashrrev_i32_e32 v20, 31, v19
	v_lshlrev_b64 v[5:6], 2, v[19:20]
	v_add_co_u32_e32 v5, vcc, s14, v5
	v_addc_co_u32_e32 v6, vcc, v26, v6, vcc
	global_load_dword v9, v[5:6], off
	v_lshlrev_b64 v[5:6], 4, v[19:20]
	v_add_co_u32_e32 v20, vcc, s16, v5
	v_addc_co_u32_e32 v21, vcc, v27, v6, vcc
	global_load_dwordx4 v[5:8], v[20:21], off
	s_waitcnt vmcnt(1)
	v_subrev_u32_e32 v9, s10, v9
	v_ashrrev_i32_e32 v10, 31, v9
	v_lshlrev_b64 v[9:10], 2, v[9:10]
	v_add_co_u32_e32 v22, vcc, s12, v9
	v_addc_co_u32_e32 v23, vcc, v28, v10, vcc
	v_add_co_u32_e32 v32, vcc, s18, v9
	v_addc_co_u32_e32 v33, vcc, v29, v10, vcc
	;; [unrolled: 2-line block ×3, first 2 shown]
	global_load_dword v12, v[22:23], off offset:4
	global_load_dword v11, v[32:33], off
	global_load_dword v34, v[9:10], off glc
	s_waitcnt vmcnt(0)
	v_cmp_eq_u32_e32 vcc, 0, v34
	s_and_saveexec_b64 s[8:9], vcc
	s_cbranch_execz .LBB51_15
; %bb.13:                               ;   in Loop: Header=BB51_12 Depth=1
	s_mov_b64 s[30:31], 0
.LBB51_14:                              ;   Parent Loop BB51_12 Depth=1
                                        ; =>  This Inner Loop Header: Depth=2
	global_load_dword v22, v[9:10], off glc
	s_waitcnt vmcnt(0)
	v_cmp_ne_u32_e32 vcc, 0, v22
	s_or_b64 s[30:31], vcc, s[30:31]
	s_andn2_b64 exec, exec, s[30:31]
	s_cbranch_execnz .LBB51_14
.LBB51_15:                              ;   in Loop: Header=BB51_12 Depth=1
	s_or_b64 exec, exec, s[8:9]
	v_subrev_u32_e32 v32, s10, v12
	v_add_u32_e32 v9, -1, v32
	v_cmp_eq_u32_e32 vcc, -1, v11
	v_cndmask_b32_e32 v22, v11, v9, vcc
	v_ashrrev_i32_e32 v23, 31, v22
	v_lshlrev_b64 v[9:10], 4, v[22:23]
	v_mov_b32_e32 v11, s17
	v_add_co_u32_e32 v9, vcc, s16, v9
	v_addc_co_u32_e32 v10, vcc, v11, v10, vcc
	buffer_wbinvl1_vol
	global_load_dwordx4 v[9:12], v[9:10], off
	s_mov_b64 s[30:31], -1
	s_waitcnt vmcnt(0)
	v_cmp_neq_f64_e32 vcc, 0, v[9:10]
	v_cmp_neq_f64_e64 s[8:9], 0, v[11:12]
	s_or_b64 s[8:9], vcc, s[8:9]
	s_and_saveexec_b64 s[34:35], s[8:9]
	s_xor_b64 s[8:9], exec, s[34:35]
	s_cbranch_execz .LBB51_11
; %bb.16:                               ;   in Loop: Header=BB51_12 Depth=1
	v_mul_f64 v[33:34], v[11:12], v[11:12]
	v_add_u32_e32 v19, 1, v19
	v_fma_f64 v[33:34], v[9:10], v[9:10], v[33:34]
	v_div_scale_f64 v[35:36], s[30:31], v[33:34], v[33:34], 1.0
	v_rcp_f64_e32 v[37:38], v[35:36]
	v_fma_f64 v[39:40], -v[35:36], v[37:38], 1.0
	v_fma_f64 v[37:38], v[37:38], v[39:40], v[37:38]
	v_div_scale_f64 v[39:40], vcc, 1.0, v[33:34], 1.0
	v_fma_f64 v[41:42], -v[35:36], v[37:38], 1.0
	v_fma_f64 v[37:38], v[37:38], v[41:42], v[37:38]
	v_mul_f64 v[41:42], v[39:40], v[37:38]
	v_fma_f64 v[35:36], -v[35:36], v[41:42], v[39:40]
	v_div_fmas_f64 v[35:36], v[35:36], v[37:38], v[41:42]
	v_mul_f64 v[37:38], v[7:8], v[11:12]
	v_mul_f64 v[11:12], v[11:12], -v[5:6]
	v_fma_f64 v[5:6], v[5:6], v[9:10], v[37:38]
	v_fma_f64 v[7:8], v[7:8], v[9:10], v[11:12]
	v_add_u32_e32 v9, v25, v22
	v_cmp_lt_i32_e32 vcc, v9, v32
	v_div_fixup_f64 v[33:34], v[35:36], v[33:34], 1.0
	v_mul_f64 v[5:6], v[5:6], v[33:34]
	v_mul_f64 v[7:8], v[7:8], v[33:34]
	global_store_dwordx4 v[20:21], v[5:8], off
	s_and_saveexec_b64 s[30:31], vcc
	s_cbranch_execz .LBB51_10
; %bb.17:                               ;   in Loop: Header=BB51_12 Depth=1
	s_mov_b64 s[34:35], 0
	v_mov_b32_e32 v11, v19
	s_branch .LBB51_19
.LBB51_18:                              ;   in Loop: Header=BB51_19 Depth=2
	s_or_b64 exec, exec, s[38:39]
	v_add_u32_e32 v9, 64, v9
	v_cmp_ge_i32_e32 vcc, v9, v32
	s_or_b64 s[34:35], vcc, s[34:35]
	s_andn2_b64 exec, exec, s[34:35]
	s_cbranch_execz .LBB51_10
.LBB51_19:                              ;   Parent Loop BB51_12 Depth=1
                                        ; =>  This Loop Header: Depth=2
                                        ;       Child Loop BB51_21 Depth 3
	v_ashrrev_i32_e32 v10, 31, v9
	v_lshlrev_b64 v[20:21], 2, v[9:10]
	v_add_u32_e32 v12, v11, v30
	v_mov_b32_e32 v35, s15
	v_add_co_u32_e32 v22, vcc, s14, v20
	v_ashrrev_i32_e32 v20, 1, v12
	v_addc_co_u32_e32 v23, vcc, v35, v21, vcc
	v_ashrrev_i32_e32 v21, 31, v20
	v_lshlrev_b64 v[33:34], 2, v[20:21]
	v_add_co_u32_e32 v33, vcc, s14, v33
	v_addc_co_u32_e32 v34, vcc, v35, v34, vcc
	global_load_dword v12, v[22:23], off
	global_load_dword v21, v[33:34], off
	v_cmp_lt_i32_e32 vcc, v11, v30
	s_and_saveexec_b64 s[38:39], vcc
	s_cbranch_execz .LBB51_23
; %bb.20:                               ;   in Loop: Header=BB51_19 Depth=2
	s_mov_b64 s[40:41], 0
	v_mov_b32_e32 v22, v30
.LBB51_21:                              ;   Parent Loop BB51_12 Depth=1
                                        ;     Parent Loop BB51_19 Depth=2
                                        ; =>    This Inner Loop Header: Depth=3
	v_add_u32_e32 v23, 1, v20
	s_waitcnt vmcnt(0)
	v_cmp_lt_i32_e32 vcc, v21, v12
	v_cndmask_b32_e32 v22, v20, v22, vcc
	v_cndmask_b32_e32 v11, v11, v23, vcc
	v_add_u32_e32 v20, v22, v11
	v_ashrrev_i32_e32 v20, 1, v20
	v_ashrrev_i32_e32 v21, 31, v20
	v_lshlrev_b64 v[33:34], 2, v[20:21]
	v_mov_b32_e32 v21, s15
	v_add_co_u32_e32 v33, vcc, s14, v33
	v_addc_co_u32_e32 v34, vcc, v21, v34, vcc
	global_load_dword v21, v[33:34], off
	v_cmp_ge_i32_e32 vcc, v11, v22
	s_or_b64 s[40:41], vcc, s[40:41]
	s_andn2_b64 exec, exec, s[40:41]
	s_cbranch_execnz .LBB51_21
; %bb.22:                               ;   in Loop: Header=BB51_19 Depth=2
	s_or_b64 exec, exec, s[40:41]
.LBB51_23:                              ;   in Loop: Header=BB51_19 Depth=2
	s_or_b64 exec, exec, s[38:39]
	s_waitcnt vmcnt(0)
	v_cmp_eq_u32_e32 vcc, v21, v12
	s_and_saveexec_b64 s[38:39], vcc
	s_cbranch_execz .LBB51_18
; %bb.24:                               ;   in Loop: Header=BB51_19 Depth=2
	v_lshlrev_b64 v[20:21], 4, v[9:10]
	v_mov_b32_e32 v10, s17
	v_add_co_u32_e32 v37, vcc, s16, v20
	v_ashrrev_i32_e32 v12, 31, v11
	v_addc_co_u32_e32 v38, vcc, v10, v21, vcc
	v_lshlrev_b64 v[20:21], 4, v[11:12]
	v_add_co_u32_e32 v39, vcc, s16, v20
	v_addc_co_u32_e32 v40, vcc, v10, v21, vcc
	global_load_dwordx4 v[20:23], v[37:38], off
	global_load_dwordx4 v[33:36], v[39:40], off
	s_waitcnt vmcnt(0)
	v_fma_f64 v[33:34], -v[5:6], v[20:21], v[33:34]
	v_fma_f64 v[35:36], -v[7:8], v[20:21], v[35:36]
	v_fma_f64 v[20:21], v[7:8], v[22:23], v[33:34]
	v_fma_f64 v[22:23], -v[5:6], v[22:23], v[35:36]
	global_store_dwordx4 v[39:40], v[20:23], off
	s_branch .LBB51_18
.LBB51_25:
	s_or_b64 exec, exec, s[22:23]
	v_cmp_lt_i32_e32 vcc, -1, v18
	s_and_saveexec_b64 s[12:13], vcc
	s_cbranch_execz .LBB51_47
; %bb.26:
	v_mov_b32_e32 v19, 0
	v_lshlrev_b64 v[5:6], 4, v[18:19]
	v_mov_b32_e32 v7, s17
	v_add_co_u32_e32 v9, vcc, s16, v5
	v_addc_co_u32_e32 v10, vcc, v7, v6, vcc
	global_load_dwordx4 v[5:8], v[9:10], off
                                        ; implicit-def: $vgpr20_vgpr21
	s_waitcnt vmcnt(0)
	v_cmp_gt_f64_e32 vcc, 0, v[5:6]
	v_xor_b32_e32 v12, 0x80000000, v6
	v_xor_b32_e32 v18, 0x80000000, v8
	v_mov_b32_e32 v11, v5
	v_cndmask_b32_e32 v12, v6, v12, vcc
	v_cmp_gt_f64_e32 vcc, 0, v[7:8]
	v_cndmask_b32_e32 v19, v8, v18, vcc
	v_mov_b32_e32 v18, v7
	v_cmp_ngt_f64_e32 vcc, v[11:12], v[18:19]
	s_and_saveexec_b64 s[8:9], vcc
	s_xor_b64 s[8:9], exec, s[8:9]
	s_cbranch_execz .LBB51_30
; %bb.27:
	v_cmp_neq_f64_e32 vcc, 0, v[7:8]
	v_mov_b32_e32 v20, 0
	v_mov_b32_e32 v21, 0
	s_and_saveexec_b64 s[14:15], vcc
	s_cbranch_execz .LBB51_29
; %bb.28:
	v_div_scale_f64 v[20:21], s[16:17], v[18:19], v[18:19], v[11:12]
	s_mov_b32 s16, 0
	s_brev_b32 s17, 8
	v_rcp_f64_e32 v[22:23], v[20:21]
	v_fma_f64 v[25:26], -v[20:21], v[22:23], 1.0
	v_fma_f64 v[22:23], v[22:23], v[25:26], v[22:23]
	v_div_scale_f64 v[25:26], vcc, v[11:12], v[18:19], v[11:12]
	v_fma_f64 v[27:28], -v[20:21], v[22:23], 1.0
	v_fma_f64 v[22:23], v[22:23], v[27:28], v[22:23]
	v_mul_f64 v[27:28], v[25:26], v[22:23]
	v_fma_f64 v[20:21], -v[20:21], v[27:28], v[25:26]
	v_div_fmas_f64 v[20:21], v[20:21], v[22:23], v[27:28]
	v_div_fixup_f64 v[11:12], v[20:21], v[18:19], v[11:12]
	v_mov_b32_e32 v20, 0x100
	v_fma_f64 v[11:12], v[11:12], v[11:12], 1.0
	v_cmp_gt_f64_e32 vcc, s[16:17], v[11:12]
	v_cndmask_b32_e32 v20, 0, v20, vcc
	v_ldexp_f64 v[11:12], v[11:12], v20
	v_rsq_f64_e32 v[20:21], v[11:12]
	v_mul_f64 v[22:23], v[11:12], v[20:21]
	v_mul_f64 v[20:21], v[20:21], 0.5
	v_fma_f64 v[25:26], -v[20:21], v[22:23], 0.5
	v_fma_f64 v[22:23], v[22:23], v[25:26], v[22:23]
	v_fma_f64 v[20:21], v[20:21], v[25:26], v[20:21]
	v_fma_f64 v[25:26], -v[22:23], v[22:23], v[11:12]
	v_fma_f64 v[22:23], v[25:26], v[20:21], v[22:23]
	v_fma_f64 v[25:26], -v[22:23], v[22:23], v[11:12]
	v_fma_f64 v[20:21], v[25:26], v[20:21], v[22:23]
	v_mov_b32_e32 v22, 0xffffff80
	v_mov_b32_e32 v23, 0x260
	v_cndmask_b32_e32 v22, 0, v22, vcc
	v_cmp_class_f64_e32 vcc, v[11:12], v23
	v_ldexp_f64 v[20:21], v[20:21], v22
	v_cndmask_b32_e32 v12, v21, v12, vcc
	v_cndmask_b32_e32 v11, v20, v11, vcc
	v_mul_f64 v[20:21], v[18:19], v[11:12]
.LBB51_29:
	s_or_b64 exec, exec, s[14:15]
                                        ; implicit-def: $vgpr11_vgpr12
                                        ; implicit-def: $vgpr18_vgpr19
.LBB51_30:
	s_andn2_saveexec_b64 s[8:9], s[8:9]
	s_cbranch_execz .LBB51_32
; %bb.31:
	v_div_scale_f64 v[20:21], s[14:15], v[11:12], v[11:12], v[18:19]
	s_mov_b32 s14, 0
	s_brev_b32 s15, 8
	v_rcp_f64_e32 v[22:23], v[20:21]
	v_fma_f64 v[25:26], -v[20:21], v[22:23], 1.0
	v_fma_f64 v[22:23], v[22:23], v[25:26], v[22:23]
	v_div_scale_f64 v[25:26], vcc, v[18:19], v[11:12], v[18:19]
	v_fma_f64 v[27:28], -v[20:21], v[22:23], 1.0
	v_fma_f64 v[22:23], v[22:23], v[27:28], v[22:23]
	v_mul_f64 v[27:28], v[25:26], v[22:23]
	v_fma_f64 v[20:21], -v[20:21], v[27:28], v[25:26]
	v_div_fmas_f64 v[20:21], v[20:21], v[22:23], v[27:28]
	v_div_fixup_f64 v[18:19], v[20:21], v[11:12], v[18:19]
	v_mov_b32_e32 v20, 0x100
	v_fma_f64 v[18:19], v[18:19], v[18:19], 1.0
	v_cmp_gt_f64_e32 vcc, s[14:15], v[18:19]
	v_cndmask_b32_e32 v20, 0, v20, vcc
	v_ldexp_f64 v[18:19], v[18:19], v20
	v_rsq_f64_e32 v[20:21], v[18:19]
	v_mul_f64 v[22:23], v[18:19], v[20:21]
	v_mul_f64 v[20:21], v[20:21], 0.5
	v_fma_f64 v[25:26], -v[20:21], v[22:23], 0.5
	v_fma_f64 v[22:23], v[22:23], v[25:26], v[22:23]
	v_fma_f64 v[20:21], v[20:21], v[25:26], v[20:21]
	v_fma_f64 v[25:26], -v[22:23], v[22:23], v[18:19]
	v_fma_f64 v[22:23], v[25:26], v[20:21], v[22:23]
	v_fma_f64 v[25:26], -v[22:23], v[22:23], v[18:19]
	v_fma_f64 v[20:21], v[25:26], v[20:21], v[22:23]
	v_mov_b32_e32 v22, 0xffffff80
	v_mov_b32_e32 v23, 0x260
	v_cndmask_b32_e32 v22, 0, v22, vcc
	v_cmp_class_f64_e32 vcc, v[18:19], v23
	v_ldexp_f64 v[20:21], v[20:21], v22
	v_cndmask_b32_e32 v19, v21, v19, vcc
	v_cndmask_b32_e32 v18, v20, v18, vcc
	v_mul_f64 v[20:21], v[11:12], v[18:19]
.LBB51_32:
	s_or_b64 exec, exec, s[8:9]
	v_cmp_eq_u32_e64 s[8:9], 0, v0
	s_and_b64 vcc, exec, s[6:7]
	s_mov_b64 s[6:7], -1
	s_cbranch_vccnz .LBB51_36
; %bb.33:
	v_cvt_f64_f32_e32 v[11:12], v24
	s_cmp_eq_u64 s[36:37], 8
	s_cselect_b64 vcc, -1, 0
	v_cndmask_b32_e32 v12, v12, v16, vcc
	v_cndmask_b32_e32 v11, v11, v15, vcc
	v_cmp_le_f64_e32 vcc, v[20:21], v[11:12]
	s_and_b64 s[14:15], s[8:9], vcc
	s_and_saveexec_b64 s[6:7], s[14:15]
	s_cbranch_execz .LBB51_35
; %bb.34:
	global_store_dwordx4 v[9:10], v[1:4], off
.LBB51_35:
	s_or_b64 exec, exec, s[6:7]
	s_mov_b64 s[6:7], 0
.LBB51_36:
	s_andn2_b64 vcc, exec, s[6:7]
	s_cbranch_vccnz .LBB51_47
; %bb.37:
	s_load_dwordx2 s[4:5], s[4:5], 0x48
	v_add_u32_e32 v1, s10, v17
	s_waitcnt lgkmcnt(0)
	v_cmp_ge_f64_e32 vcc, s[4:5], v[20:21]
	s_and_b64 s[6:7], s[8:9], vcc
	s_and_saveexec_b64 s[4:5], s[6:7]
	s_cbranch_execz .LBB51_42
; %bb.38:
	s_mov_b64 s[6:7], exec
	s_brev_b32 s10, -2
.LBB51_39:                              ; =>This Inner Loop Header: Depth=1
	s_ff1_i32_b64 s11, s[6:7]
	v_readlane_b32 s16, v1, s11
	s_lshl_b64 s[14:15], 1, s11
	s_min_i32 s10, s10, s16
	s_andn2_b64 s[6:7], s[6:7], s[14:15]
	s_cmp_lg_u64 s[6:7], 0
	s_cbranch_scc1 .LBB51_39
; %bb.40:
	v_mbcnt_lo_u32_b32 v2, exec_lo, 0
	v_mbcnt_hi_u32_b32 v2, exec_hi, v2
	v_cmp_eq_u32_e32 vcc, 0, v2
	s_and_saveexec_b64 s[6:7], vcc
	s_xor_b64 s[6:7], exec, s[6:7]
	s_cbranch_execz .LBB51_42
; %bb.41:
	v_mov_b32_e32 v2, 0
	v_mov_b32_e32 v3, s10
	global_atomic_smin v2, v3, s[26:27]
.LBB51_42:
	s_or_b64 exec, exec, s[4:5]
	v_cmp_eq_f64_e32 vcc, 0, v[5:6]
	v_cmp_eq_f64_e64 s[4:5], 0, v[7:8]
	s_and_b64 s[4:5], vcc, s[4:5]
	s_and_b64 s[4:5], s[8:9], s[4:5]
	s_and_b64 exec, exec, s[4:5]
	s_cbranch_execz .LBB51_47
; %bb.43:
	s_mov_b64 s[4:5], exec
	s_brev_b32 s6, -2
.LBB51_44:                              ; =>This Inner Loop Header: Depth=1
	s_ff1_i32_b64 s7, s[4:5]
	v_readlane_b32 s10, v1, s7
	s_lshl_b64 s[8:9], 1, s7
	s_min_i32 s6, s6, s10
	s_andn2_b64 s[4:5], s[4:5], s[8:9]
	s_cmp_lg_u64 s[4:5], 0
	s_cbranch_scc1 .LBB51_44
; %bb.45:
	v_mbcnt_lo_u32_b32 v1, exec_lo, 0
	v_mbcnt_hi_u32_b32 v1, exec_hi, v1
	v_cmp_eq_u32_e32 vcc, 0, v1
	s_and_saveexec_b64 s[4:5], vcc
	s_xor_b64 s[4:5], exec, s[4:5]
	s_cbranch_execz .LBB51_47
; %bb.46:
	v_mov_b32_e32 v1, 0
	v_mov_b32_e32 v2, s6
	global_atomic_smin v1, v2, s[24:25]
.LBB51_47:
	s_or_b64 exec, exec, s[12:13]
	v_cmp_eq_u32_e32 vcc, 0, v0
	s_waitcnt vmcnt(0)
	buffer_wbinvl1_vol
	s_and_b64 exec, exec, vcc
	s_cbranch_execz .LBB51_49
; %bb.48:
	v_mov_b32_e32 v1, s21
	v_add_co_u32_e32 v0, vcc, s20, v13
	v_addc_co_u32_e32 v1, vcc, v1, v14, vcc
	v_mov_b32_e32 v2, 1
	global_store_dword v[0:1], v2, off
.LBB51_49:
	s_endpgm
	.section	.rodata,"a",@progbits
	.p2align	6, 0x0
	.amdhsa_kernel _ZN9rocsparseL17csrilu0_binsearchILj256ELj64ELb0E21rocsparse_complex_numIdEEEviPKiS4_PT2_S4_PiS4_S7_S7_d21rocsparse_index_base_imNS_24const_host_device_scalarIfEENS9_IdEENS9_IS5_EEb
		.amdhsa_group_segment_fixed_size 0
		.amdhsa_private_segment_fixed_size 16
		.amdhsa_kernarg_size 132
		.amdhsa_user_sgpr_count 8
		.amdhsa_user_sgpr_private_segment_buffer 1
		.amdhsa_user_sgpr_dispatch_ptr 0
		.amdhsa_user_sgpr_queue_ptr 0
		.amdhsa_user_sgpr_kernarg_segment_ptr 1
		.amdhsa_user_sgpr_dispatch_id 0
		.amdhsa_user_sgpr_flat_scratch_init 1
		.amdhsa_user_sgpr_private_segment_size 0
		.amdhsa_uses_dynamic_stack 0
		.amdhsa_system_sgpr_private_segment_wavefront_offset 1
		.amdhsa_system_sgpr_workgroup_id_x 1
		.amdhsa_system_sgpr_workgroup_id_y 0
		.amdhsa_system_sgpr_workgroup_id_z 0
		.amdhsa_system_sgpr_workgroup_info 0
		.amdhsa_system_vgpr_workitem_id 0
		.amdhsa_next_free_vgpr 43
		.amdhsa_next_free_sgpr 44
		.amdhsa_reserve_vcc 1
		.amdhsa_reserve_flat_scratch 1
		.amdhsa_float_round_mode_32 0
		.amdhsa_float_round_mode_16_64 0
		.amdhsa_float_denorm_mode_32 3
		.amdhsa_float_denorm_mode_16_64 3
		.amdhsa_dx10_clamp 1
		.amdhsa_ieee_mode 1
		.amdhsa_fp16_overflow 0
		.amdhsa_exception_fp_ieee_invalid_op 0
		.amdhsa_exception_fp_denorm_src 0
		.amdhsa_exception_fp_ieee_div_zero 0
		.amdhsa_exception_fp_ieee_overflow 0
		.amdhsa_exception_fp_ieee_underflow 0
		.amdhsa_exception_fp_ieee_inexact 0
		.amdhsa_exception_int_div_zero 0
	.end_amdhsa_kernel
	.section	.text._ZN9rocsparseL17csrilu0_binsearchILj256ELj64ELb0E21rocsparse_complex_numIdEEEviPKiS4_PT2_S4_PiS4_S7_S7_d21rocsparse_index_base_imNS_24const_host_device_scalarIfEENS9_IdEENS9_IS5_EEb,"axG",@progbits,_ZN9rocsparseL17csrilu0_binsearchILj256ELj64ELb0E21rocsparse_complex_numIdEEEviPKiS4_PT2_S4_PiS4_S7_S7_d21rocsparse_index_base_imNS_24const_host_device_scalarIfEENS9_IdEENS9_IS5_EEb,comdat
.Lfunc_end51:
	.size	_ZN9rocsparseL17csrilu0_binsearchILj256ELj64ELb0E21rocsparse_complex_numIdEEEviPKiS4_PT2_S4_PiS4_S7_S7_d21rocsparse_index_base_imNS_24const_host_device_scalarIfEENS9_IdEENS9_IS5_EEb, .Lfunc_end51-_ZN9rocsparseL17csrilu0_binsearchILj256ELj64ELb0E21rocsparse_complex_numIdEEEviPKiS4_PT2_S4_PiS4_S7_S7_d21rocsparse_index_base_imNS_24const_host_device_scalarIfEENS9_IdEENS9_IS5_EEb
                                        ; -- End function
	.set _ZN9rocsparseL17csrilu0_binsearchILj256ELj64ELb0E21rocsparse_complex_numIdEEEviPKiS4_PT2_S4_PiS4_S7_S7_d21rocsparse_index_base_imNS_24const_host_device_scalarIfEENS9_IdEENS9_IS5_EEb.num_vgpr, 43
	.set _ZN9rocsparseL17csrilu0_binsearchILj256ELj64ELb0E21rocsparse_complex_numIdEEEviPKiS4_PT2_S4_PiS4_S7_S7_d21rocsparse_index_base_imNS_24const_host_device_scalarIfEENS9_IdEENS9_IS5_EEb.num_agpr, 0
	.set _ZN9rocsparseL17csrilu0_binsearchILj256ELj64ELb0E21rocsparse_complex_numIdEEEviPKiS4_PT2_S4_PiS4_S7_S7_d21rocsparse_index_base_imNS_24const_host_device_scalarIfEENS9_IdEENS9_IS5_EEb.numbered_sgpr, 44
	.set _ZN9rocsparseL17csrilu0_binsearchILj256ELj64ELb0E21rocsparse_complex_numIdEEEviPKiS4_PT2_S4_PiS4_S7_S7_d21rocsparse_index_base_imNS_24const_host_device_scalarIfEENS9_IdEENS9_IS5_EEb.num_named_barrier, 0
	.set _ZN9rocsparseL17csrilu0_binsearchILj256ELj64ELb0E21rocsparse_complex_numIdEEEviPKiS4_PT2_S4_PiS4_S7_S7_d21rocsparse_index_base_imNS_24const_host_device_scalarIfEENS9_IdEENS9_IS5_EEb.private_seg_size, 16
	.set _ZN9rocsparseL17csrilu0_binsearchILj256ELj64ELb0E21rocsparse_complex_numIdEEEviPKiS4_PT2_S4_PiS4_S7_S7_d21rocsparse_index_base_imNS_24const_host_device_scalarIfEENS9_IdEENS9_IS5_EEb.uses_vcc, 1
	.set _ZN9rocsparseL17csrilu0_binsearchILj256ELj64ELb0E21rocsparse_complex_numIdEEEviPKiS4_PT2_S4_PiS4_S7_S7_d21rocsparse_index_base_imNS_24const_host_device_scalarIfEENS9_IdEENS9_IS5_EEb.uses_flat_scratch, 1
	.set _ZN9rocsparseL17csrilu0_binsearchILj256ELj64ELb0E21rocsparse_complex_numIdEEEviPKiS4_PT2_S4_PiS4_S7_S7_d21rocsparse_index_base_imNS_24const_host_device_scalarIfEENS9_IdEENS9_IS5_EEb.has_dyn_sized_stack, 0
	.set _ZN9rocsparseL17csrilu0_binsearchILj256ELj64ELb0E21rocsparse_complex_numIdEEEviPKiS4_PT2_S4_PiS4_S7_S7_d21rocsparse_index_base_imNS_24const_host_device_scalarIfEENS9_IdEENS9_IS5_EEb.has_recursion, 0
	.set _ZN9rocsparseL17csrilu0_binsearchILj256ELj64ELb0E21rocsparse_complex_numIdEEEviPKiS4_PT2_S4_PiS4_S7_S7_d21rocsparse_index_base_imNS_24const_host_device_scalarIfEENS9_IdEENS9_IS5_EEb.has_indirect_call, 0
	.section	.AMDGPU.csdata,"",@progbits
; Kernel info:
; codeLenInByte = 2340
; TotalNumSgprs: 50
; NumVgprs: 43
; ScratchSize: 16
; MemoryBound: 0
; FloatMode: 240
; IeeeMode: 1
; LDSByteSize: 0 bytes/workgroup (compile time only)
; SGPRBlocks: 6
; VGPRBlocks: 10
; NumSGPRsForWavesPerEU: 50
; NumVGPRsForWavesPerEU: 43
; Occupancy: 5
; WaveLimiterHint : 1
; COMPUTE_PGM_RSRC2:SCRATCH_EN: 1
; COMPUTE_PGM_RSRC2:USER_SGPR: 8
; COMPUTE_PGM_RSRC2:TRAP_HANDLER: 0
; COMPUTE_PGM_RSRC2:TGID_X_EN: 1
; COMPUTE_PGM_RSRC2:TGID_Y_EN: 0
; COMPUTE_PGM_RSRC2:TGID_Z_EN: 0
; COMPUTE_PGM_RSRC2:TIDIG_COMP_CNT: 0
	.section	.AMDGPU.gpr_maximums,"",@progbits
	.set amdgpu.max_num_vgpr, 0
	.set amdgpu.max_num_agpr, 0
	.set amdgpu.max_num_sgpr, 0
	.section	.AMDGPU.csdata,"",@progbits
	.type	__hip_cuid_c1b8f84868c5734d,@object ; @__hip_cuid_c1b8f84868c5734d
	.section	.bss,"aw",@nobits
	.globl	__hip_cuid_c1b8f84868c5734d
__hip_cuid_c1b8f84868c5734d:
	.byte	0                               ; 0x0
	.size	__hip_cuid_c1b8f84868c5734d, 1

	.ident	"AMD clang version 22.0.0git (https://github.com/RadeonOpenCompute/llvm-project roc-7.2.4 26084 f58b06dce1f9c15707c5f808fd002e18c2accf7e)"
	.section	".note.GNU-stack","",@progbits
	.addrsig
	.addrsig_sym __hip_cuid_c1b8f84868c5734d
	.amdgpu_metadata
---
amdhsa.kernels:
  - .args:
      - .offset:         0
        .size:           4
        .value_kind:     by_value
      - .address_space:  global
        .offset:         8
        .size:           8
        .value_kind:     global_buffer
      - .address_space:  global
        .offset:         16
        .size:           8
        .value_kind:     global_buffer
      - .address_space:  global
        .offset:         24
        .size:           8
        .value_kind:     global_buffer
      - .address_space:  global
        .offset:         32
        .size:           8
        .value_kind:     global_buffer
      - .address_space:  global
        .offset:         40
        .size:           8
        .value_kind:     global_buffer
      - .address_space:  global
        .offset:         48
        .size:           8
        .value_kind:     global_buffer
      - .address_space:  global
        .offset:         56
        .size:           8
        .value_kind:     global_buffer
      - .address_space:  global
        .offset:         64
        .size:           8
        .value_kind:     global_buffer
      - .offset:         72
        .size:           8
        .value_kind:     by_value
      - .offset:         80
        .size:           4
        .value_kind:     by_value
      - .offset:         84
        .size:           4
        .value_kind:     by_value
      - .offset:         88
        .size:           8
        .value_kind:     by_value
      - .offset:         96
        .size:           8
        .value_kind:     by_value
      - .offset:         104
        .size:           8
        .value_kind:     by_value
      - .offset:         112
        .size:           8
        .value_kind:     by_value
      - .offset:         120
        .size:           1
        .value_kind:     by_value
    .group_segment_fixed_size: 0
    .kernarg_segment_align: 8
    .kernarg_segment_size: 124
    .language:       OpenCL C
    .language_version:
      - 2
      - 0
    .max_flat_workgroup_size: 256
    .name:           _ZN9rocsparseL17csrilu0_binsearchILj256ELj64ELb1EfEEviPKiS2_PT2_S2_PiS2_S5_S5_d21rocsparse_index_base_imNS_24const_host_device_scalarIfEENS7_IdEENS7_IS3_EEb
    .private_segment_fixed_size: 0
    .sgpr_count:     42
    .sgpr_spill_count: 0
    .symbol:         _ZN9rocsparseL17csrilu0_binsearchILj256ELj64ELb1EfEEviPKiS2_PT2_S2_PiS2_S5_S5_d21rocsparse_index_base_imNS_24const_host_device_scalarIfEENS7_IdEENS7_IS3_EEb.kd
    .uniform_work_group_size: 1
    .uses_dynamic_stack: false
    .vgpr_count:     30
    .vgpr_spill_count: 0
    .wavefront_size: 64
  - .args:
      - .offset:         0
        .size:           4
        .value_kind:     by_value
      - .address_space:  global
        .offset:         8
        .size:           8
        .value_kind:     global_buffer
      - .address_space:  global
        .offset:         16
        .size:           8
        .value_kind:     global_buffer
      - .address_space:  global
        .offset:         24
        .size:           8
        .value_kind:     global_buffer
      - .address_space:  global
        .offset:         32
        .size:           8
        .value_kind:     global_buffer
      - .address_space:  global
        .offset:         40
        .size:           8
        .value_kind:     global_buffer
      - .address_space:  global
        .offset:         48
        .size:           8
        .value_kind:     global_buffer
      - .address_space:  global
        .offset:         56
        .size:           8
        .value_kind:     global_buffer
      - .address_space:  global
        .offset:         64
        .size:           8
        .value_kind:     global_buffer
      - .offset:         72
        .size:           8
        .value_kind:     by_value
      - .offset:         80
        .size:           4
        .value_kind:     by_value
      - .offset:         84
        .size:           4
        .value_kind:     by_value
      - .offset:         88
        .size:           8
        .value_kind:     by_value
      - .offset:         96
        .size:           8
        .value_kind:     by_value
      - .offset:         104
        .size:           8
        .value_kind:     by_value
      - .offset:         112
        .size:           8
        .value_kind:     by_value
      - .offset:         120
        .size:           1
        .value_kind:     by_value
    .group_segment_fixed_size: 2048
    .kernarg_segment_align: 8
    .kernarg_segment_size: 124
    .language:       OpenCL C
    .language_version:
      - 2
      - 0
    .max_flat_workgroup_size: 256
    .name:           _ZN9rocsparseL12csrilu0_hashILj256ELj32ELj1EfEEviPKiS2_PT2_S2_PiS2_S5_S5_d21rocsparse_index_base_imNS_24const_host_device_scalarIfEENS7_IdEENS7_IS3_EEb
    .private_segment_fixed_size: 0
    .sgpr_count:     66
    .sgpr_spill_count: 0
    .symbol:         _ZN9rocsparseL12csrilu0_hashILj256ELj32ELj1EfEEviPKiS2_PT2_S2_PiS2_S5_S5_d21rocsparse_index_base_imNS_24const_host_device_scalarIfEENS7_IdEENS7_IS3_EEb.kd
    .uniform_work_group_size: 1
    .uses_dynamic_stack: false
    .vgpr_count:     29
    .vgpr_spill_count: 0
    .wavefront_size: 64
  - .args:
      - .offset:         0
        .size:           4
        .value_kind:     by_value
      - .address_space:  global
        .offset:         8
        .size:           8
        .value_kind:     global_buffer
      - .address_space:  global
        .offset:         16
        .size:           8
        .value_kind:     global_buffer
      - .address_space:  global
        .offset:         24
        .size:           8
        .value_kind:     global_buffer
      - .address_space:  global
        .offset:         32
        .size:           8
        .value_kind:     global_buffer
      - .address_space:  global
        .offset:         40
        .size:           8
        .value_kind:     global_buffer
      - .address_space:  global
        .offset:         48
        .size:           8
        .value_kind:     global_buffer
      - .address_space:  global
        .offset:         56
        .size:           8
        .value_kind:     global_buffer
      - .address_space:  global
        .offset:         64
        .size:           8
        .value_kind:     global_buffer
      - .offset:         72
        .size:           8
        .value_kind:     by_value
      - .offset:         80
        .size:           4
        .value_kind:     by_value
      - .offset:         84
        .size:           4
        .value_kind:     by_value
      - .offset:         88
        .size:           8
        .value_kind:     by_value
      - .offset:         96
        .size:           8
        .value_kind:     by_value
      - .offset:         104
        .size:           8
        .value_kind:     by_value
      - .offset:         112
        .size:           8
        .value_kind:     by_value
      - .offset:         120
        .size:           1
        .value_kind:     by_value
    .group_segment_fixed_size: 4096
    .kernarg_segment_align: 8
    .kernarg_segment_size: 124
    .language:       OpenCL C
    .language_version:
      - 2
      - 0
    .max_flat_workgroup_size: 256
    .name:           _ZN9rocsparseL12csrilu0_hashILj256ELj32ELj2EfEEviPKiS2_PT2_S2_PiS2_S5_S5_d21rocsparse_index_base_imNS_24const_host_device_scalarIfEENS7_IdEENS7_IS3_EEb
    .private_segment_fixed_size: 0
    .sgpr_count:     66
    .sgpr_spill_count: 0
    .symbol:         _ZN9rocsparseL12csrilu0_hashILj256ELj32ELj2EfEEviPKiS2_PT2_S2_PiS2_S5_S5_d21rocsparse_index_base_imNS_24const_host_device_scalarIfEENS7_IdEENS7_IS3_EEb.kd
    .uniform_work_group_size: 1
    .uses_dynamic_stack: false
    .vgpr_count:     29
    .vgpr_spill_count: 0
    .wavefront_size: 64
  - .args:
      - .offset:         0
        .size:           4
        .value_kind:     by_value
      - .address_space:  global
        .offset:         8
        .size:           8
        .value_kind:     global_buffer
      - .address_space:  global
        .offset:         16
        .size:           8
        .value_kind:     global_buffer
      - .address_space:  global
        .offset:         24
        .size:           8
        .value_kind:     global_buffer
      - .address_space:  global
        .offset:         32
        .size:           8
        .value_kind:     global_buffer
      - .address_space:  global
        .offset:         40
        .size:           8
        .value_kind:     global_buffer
      - .address_space:  global
        .offset:         48
        .size:           8
        .value_kind:     global_buffer
      - .address_space:  global
        .offset:         56
        .size:           8
        .value_kind:     global_buffer
      - .address_space:  global
        .offset:         64
        .size:           8
        .value_kind:     global_buffer
      - .offset:         72
        .size:           8
        .value_kind:     by_value
      - .offset:         80
        .size:           4
        .value_kind:     by_value
      - .offset:         84
        .size:           4
        .value_kind:     by_value
      - .offset:         88
        .size:           8
        .value_kind:     by_value
      - .offset:         96
        .size:           8
        .value_kind:     by_value
      - .offset:         104
        .size:           8
        .value_kind:     by_value
      - .offset:         112
        .size:           8
        .value_kind:     by_value
      - .offset:         120
        .size:           1
        .value_kind:     by_value
    .group_segment_fixed_size: 8192
    .kernarg_segment_align: 8
    .kernarg_segment_size: 124
    .language:       OpenCL C
    .language_version:
      - 2
      - 0
    .max_flat_workgroup_size: 256
    .name:           _ZN9rocsparseL12csrilu0_hashILj256ELj32ELj4EfEEviPKiS2_PT2_S2_PiS2_S5_S5_d21rocsparse_index_base_imNS_24const_host_device_scalarIfEENS7_IdEENS7_IS3_EEb
    .private_segment_fixed_size: 0
    .sgpr_count:     66
    .sgpr_spill_count: 0
    .symbol:         _ZN9rocsparseL12csrilu0_hashILj256ELj32ELj4EfEEviPKiS2_PT2_S2_PiS2_S5_S5_d21rocsparse_index_base_imNS_24const_host_device_scalarIfEENS7_IdEENS7_IS3_EEb.kd
    .uniform_work_group_size: 1
    .uses_dynamic_stack: false
    .vgpr_count:     30
    .vgpr_spill_count: 0
    .wavefront_size: 64
  - .args:
      - .offset:         0
        .size:           4
        .value_kind:     by_value
      - .address_space:  global
        .offset:         8
        .size:           8
        .value_kind:     global_buffer
      - .address_space:  global
        .offset:         16
        .size:           8
        .value_kind:     global_buffer
      - .address_space:  global
        .offset:         24
        .size:           8
        .value_kind:     global_buffer
      - .address_space:  global
        .offset:         32
        .size:           8
        .value_kind:     global_buffer
      - .address_space:  global
        .offset:         40
        .size:           8
        .value_kind:     global_buffer
      - .address_space:  global
        .offset:         48
        .size:           8
        .value_kind:     global_buffer
      - .address_space:  global
        .offset:         56
        .size:           8
        .value_kind:     global_buffer
      - .address_space:  global
        .offset:         64
        .size:           8
        .value_kind:     global_buffer
      - .offset:         72
        .size:           8
        .value_kind:     by_value
      - .offset:         80
        .size:           4
        .value_kind:     by_value
      - .offset:         84
        .size:           4
        .value_kind:     by_value
      - .offset:         88
        .size:           8
        .value_kind:     by_value
      - .offset:         96
        .size:           8
        .value_kind:     by_value
      - .offset:         104
        .size:           8
        .value_kind:     by_value
      - .offset:         112
        .size:           8
        .value_kind:     by_value
      - .offset:         120
        .size:           1
        .value_kind:     by_value
    .group_segment_fixed_size: 16384
    .kernarg_segment_align: 8
    .kernarg_segment_size: 124
    .language:       OpenCL C
    .language_version:
      - 2
      - 0
    .max_flat_workgroup_size: 256
    .name:           _ZN9rocsparseL12csrilu0_hashILj256ELj32ELj8EfEEviPKiS2_PT2_S2_PiS2_S5_S5_d21rocsparse_index_base_imNS_24const_host_device_scalarIfEENS7_IdEENS7_IS3_EEb
    .private_segment_fixed_size: 0
    .sgpr_count:     66
    .sgpr_spill_count: 0
    .symbol:         _ZN9rocsparseL12csrilu0_hashILj256ELj32ELj8EfEEviPKiS2_PT2_S2_PiS2_S5_S5_d21rocsparse_index_base_imNS_24const_host_device_scalarIfEENS7_IdEENS7_IS3_EEb.kd
    .uniform_work_group_size: 1
    .uses_dynamic_stack: false
    .vgpr_count:     30
    .vgpr_spill_count: 0
    .wavefront_size: 64
  - .args:
      - .offset:         0
        .size:           4
        .value_kind:     by_value
      - .address_space:  global
        .offset:         8
        .size:           8
        .value_kind:     global_buffer
      - .address_space:  global
        .offset:         16
        .size:           8
        .value_kind:     global_buffer
      - .address_space:  global
        .offset:         24
        .size:           8
        .value_kind:     global_buffer
      - .address_space:  global
        .offset:         32
        .size:           8
        .value_kind:     global_buffer
      - .address_space:  global
        .offset:         40
        .size:           8
        .value_kind:     global_buffer
      - .address_space:  global
        .offset:         48
        .size:           8
        .value_kind:     global_buffer
      - .address_space:  global
        .offset:         56
        .size:           8
        .value_kind:     global_buffer
      - .address_space:  global
        .offset:         64
        .size:           8
        .value_kind:     global_buffer
      - .offset:         72
        .size:           8
        .value_kind:     by_value
      - .offset:         80
        .size:           4
        .value_kind:     by_value
      - .offset:         84
        .size:           4
        .value_kind:     by_value
      - .offset:         88
        .size:           8
        .value_kind:     by_value
      - .offset:         96
        .size:           8
        .value_kind:     by_value
      - .offset:         104
        .size:           8
        .value_kind:     by_value
      - .offset:         112
        .size:           8
        .value_kind:     by_value
      - .offset:         120
        .size:           1
        .value_kind:     by_value
    .group_segment_fixed_size: 32768
    .kernarg_segment_align: 8
    .kernarg_segment_size: 124
    .language:       OpenCL C
    .language_version:
      - 2
      - 0
    .max_flat_workgroup_size: 256
    .name:           _ZN9rocsparseL12csrilu0_hashILj256ELj32ELj16EfEEviPKiS2_PT2_S2_PiS2_S5_S5_d21rocsparse_index_base_imNS_24const_host_device_scalarIfEENS7_IdEENS7_IS3_EEb
    .private_segment_fixed_size: 0
    .sgpr_count:     66
    .sgpr_spill_count: 0
    .symbol:         _ZN9rocsparseL12csrilu0_hashILj256ELj32ELj16EfEEviPKiS2_PT2_S2_PiS2_S5_S5_d21rocsparse_index_base_imNS_24const_host_device_scalarIfEENS7_IdEENS7_IS3_EEb.kd
    .uniform_work_group_size: 1
    .uses_dynamic_stack: false
    .vgpr_count:     30
    .vgpr_spill_count: 0
    .wavefront_size: 64
  - .args:
      - .offset:         0
        .size:           4
        .value_kind:     by_value
      - .address_space:  global
        .offset:         8
        .size:           8
        .value_kind:     global_buffer
      - .address_space:  global
        .offset:         16
        .size:           8
        .value_kind:     global_buffer
      - .address_space:  global
        .offset:         24
        .size:           8
        .value_kind:     global_buffer
      - .address_space:  global
        .offset:         32
        .size:           8
        .value_kind:     global_buffer
      - .address_space:  global
        .offset:         40
        .size:           8
        .value_kind:     global_buffer
      - .address_space:  global
        .offset:         48
        .size:           8
        .value_kind:     global_buffer
      - .address_space:  global
        .offset:         56
        .size:           8
        .value_kind:     global_buffer
      - .address_space:  global
        .offset:         64
        .size:           8
        .value_kind:     global_buffer
      - .offset:         72
        .size:           8
        .value_kind:     by_value
      - .offset:         80
        .size:           4
        .value_kind:     by_value
      - .offset:         84
        .size:           4
        .value_kind:     by_value
      - .offset:         88
        .size:           8
        .value_kind:     by_value
      - .offset:         96
        .size:           8
        .value_kind:     by_value
      - .offset:         104
        .size:           8
        .value_kind:     by_value
      - .offset:         112
        .size:           8
        .value_kind:     by_value
      - .offset:         120
        .size:           1
        .value_kind:     by_value
    .group_segment_fixed_size: 0
    .kernarg_segment_align: 8
    .kernarg_segment_size: 124
    .language:       OpenCL C
    .language_version:
      - 2
      - 0
    .max_flat_workgroup_size: 256
    .name:           _ZN9rocsparseL17csrilu0_binsearchILj256ELj32ELb0EfEEviPKiS2_PT2_S2_PiS2_S5_S5_d21rocsparse_index_base_imNS_24const_host_device_scalarIfEENS7_IdEENS7_IS3_EEb
    .private_segment_fixed_size: 0
    .sgpr_count:     42
    .sgpr_spill_count: 0
    .symbol:         _ZN9rocsparseL17csrilu0_binsearchILj256ELj32ELb0EfEEviPKiS2_PT2_S2_PiS2_S5_S5_d21rocsparse_index_base_imNS_24const_host_device_scalarIfEENS7_IdEENS7_IS3_EEb.kd
    .uniform_work_group_size: 1
    .uses_dynamic_stack: false
    .vgpr_count:     30
    .vgpr_spill_count: 0
    .wavefront_size: 64
  - .args:
      - .offset:         0
        .size:           4
        .value_kind:     by_value
      - .address_space:  global
        .offset:         8
        .size:           8
        .value_kind:     global_buffer
      - .address_space:  global
        .offset:         16
        .size:           8
        .value_kind:     global_buffer
      - .address_space:  global
        .offset:         24
        .size:           8
        .value_kind:     global_buffer
      - .address_space:  global
        .offset:         32
        .size:           8
        .value_kind:     global_buffer
      - .address_space:  global
        .offset:         40
        .size:           8
        .value_kind:     global_buffer
      - .address_space:  global
        .offset:         48
        .size:           8
        .value_kind:     global_buffer
      - .address_space:  global
        .offset:         56
        .size:           8
        .value_kind:     global_buffer
      - .address_space:  global
        .offset:         64
        .size:           8
        .value_kind:     global_buffer
      - .offset:         72
        .size:           8
        .value_kind:     by_value
      - .offset:         80
        .size:           4
        .value_kind:     by_value
      - .offset:         84
        .size:           4
        .value_kind:     by_value
      - .offset:         88
        .size:           8
        .value_kind:     by_value
      - .offset:         96
        .size:           8
        .value_kind:     by_value
      - .offset:         104
        .size:           8
        .value_kind:     by_value
      - .offset:         112
        .size:           8
        .value_kind:     by_value
      - .offset:         120
        .size:           1
        .value_kind:     by_value
    .group_segment_fixed_size: 2048
    .kernarg_segment_align: 8
    .kernarg_segment_size: 124
    .language:       OpenCL C
    .language_version:
      - 2
      - 0
    .max_flat_workgroup_size: 256
    .name:           _ZN9rocsparseL12csrilu0_hashILj256ELj64ELj1EfEEviPKiS2_PT2_S2_PiS2_S5_S5_d21rocsparse_index_base_imNS_24const_host_device_scalarIfEENS7_IdEENS7_IS3_EEb
    .private_segment_fixed_size: 0
    .sgpr_count:     66
    .sgpr_spill_count: 0
    .symbol:         _ZN9rocsparseL12csrilu0_hashILj256ELj64ELj1EfEEviPKiS2_PT2_S2_PiS2_S5_S5_d21rocsparse_index_base_imNS_24const_host_device_scalarIfEENS7_IdEENS7_IS3_EEb.kd
    .uniform_work_group_size: 1
    .uses_dynamic_stack: false
    .vgpr_count:     29
    .vgpr_spill_count: 0
    .wavefront_size: 64
  - .args:
      - .offset:         0
        .size:           4
        .value_kind:     by_value
      - .address_space:  global
        .offset:         8
        .size:           8
        .value_kind:     global_buffer
      - .address_space:  global
        .offset:         16
        .size:           8
        .value_kind:     global_buffer
      - .address_space:  global
        .offset:         24
        .size:           8
        .value_kind:     global_buffer
      - .address_space:  global
        .offset:         32
        .size:           8
        .value_kind:     global_buffer
      - .address_space:  global
        .offset:         40
        .size:           8
        .value_kind:     global_buffer
      - .address_space:  global
        .offset:         48
        .size:           8
        .value_kind:     global_buffer
      - .address_space:  global
        .offset:         56
        .size:           8
        .value_kind:     global_buffer
      - .address_space:  global
        .offset:         64
        .size:           8
        .value_kind:     global_buffer
      - .offset:         72
        .size:           8
        .value_kind:     by_value
      - .offset:         80
        .size:           4
        .value_kind:     by_value
      - .offset:         84
        .size:           4
        .value_kind:     by_value
      - .offset:         88
        .size:           8
        .value_kind:     by_value
      - .offset:         96
        .size:           8
        .value_kind:     by_value
      - .offset:         104
        .size:           8
        .value_kind:     by_value
      - .offset:         112
        .size:           8
        .value_kind:     by_value
      - .offset:         120
        .size:           1
        .value_kind:     by_value
    .group_segment_fixed_size: 4096
    .kernarg_segment_align: 8
    .kernarg_segment_size: 124
    .language:       OpenCL C
    .language_version:
      - 2
      - 0
    .max_flat_workgroup_size: 256
    .name:           _ZN9rocsparseL12csrilu0_hashILj256ELj64ELj2EfEEviPKiS2_PT2_S2_PiS2_S5_S5_d21rocsparse_index_base_imNS_24const_host_device_scalarIfEENS7_IdEENS7_IS3_EEb
    .private_segment_fixed_size: 0
    .sgpr_count:     66
    .sgpr_spill_count: 0
    .symbol:         _ZN9rocsparseL12csrilu0_hashILj256ELj64ELj2EfEEviPKiS2_PT2_S2_PiS2_S5_S5_d21rocsparse_index_base_imNS_24const_host_device_scalarIfEENS7_IdEENS7_IS3_EEb.kd
    .uniform_work_group_size: 1
    .uses_dynamic_stack: false
    .vgpr_count:     29
    .vgpr_spill_count: 0
    .wavefront_size: 64
  - .args:
      - .offset:         0
        .size:           4
        .value_kind:     by_value
      - .address_space:  global
        .offset:         8
        .size:           8
        .value_kind:     global_buffer
      - .address_space:  global
        .offset:         16
        .size:           8
        .value_kind:     global_buffer
      - .address_space:  global
        .offset:         24
        .size:           8
        .value_kind:     global_buffer
      - .address_space:  global
        .offset:         32
        .size:           8
        .value_kind:     global_buffer
      - .address_space:  global
        .offset:         40
        .size:           8
        .value_kind:     global_buffer
      - .address_space:  global
        .offset:         48
        .size:           8
        .value_kind:     global_buffer
      - .address_space:  global
        .offset:         56
        .size:           8
        .value_kind:     global_buffer
      - .address_space:  global
        .offset:         64
        .size:           8
        .value_kind:     global_buffer
      - .offset:         72
        .size:           8
        .value_kind:     by_value
      - .offset:         80
        .size:           4
        .value_kind:     by_value
      - .offset:         84
        .size:           4
        .value_kind:     by_value
      - .offset:         88
        .size:           8
        .value_kind:     by_value
      - .offset:         96
        .size:           8
        .value_kind:     by_value
      - .offset:         104
        .size:           8
        .value_kind:     by_value
      - .offset:         112
        .size:           8
        .value_kind:     by_value
      - .offset:         120
        .size:           1
        .value_kind:     by_value
    .group_segment_fixed_size: 8192
    .kernarg_segment_align: 8
    .kernarg_segment_size: 124
    .language:       OpenCL C
    .language_version:
      - 2
      - 0
    .max_flat_workgroup_size: 256
    .name:           _ZN9rocsparseL12csrilu0_hashILj256ELj64ELj4EfEEviPKiS2_PT2_S2_PiS2_S5_S5_d21rocsparse_index_base_imNS_24const_host_device_scalarIfEENS7_IdEENS7_IS3_EEb
    .private_segment_fixed_size: 0
    .sgpr_count:     66
    .sgpr_spill_count: 0
    .symbol:         _ZN9rocsparseL12csrilu0_hashILj256ELj64ELj4EfEEviPKiS2_PT2_S2_PiS2_S5_S5_d21rocsparse_index_base_imNS_24const_host_device_scalarIfEENS7_IdEENS7_IS3_EEb.kd
    .uniform_work_group_size: 1
    .uses_dynamic_stack: false
    .vgpr_count:     30
    .vgpr_spill_count: 0
    .wavefront_size: 64
  - .args:
      - .offset:         0
        .size:           4
        .value_kind:     by_value
      - .address_space:  global
        .offset:         8
        .size:           8
        .value_kind:     global_buffer
      - .address_space:  global
        .offset:         16
        .size:           8
        .value_kind:     global_buffer
      - .address_space:  global
        .offset:         24
        .size:           8
        .value_kind:     global_buffer
      - .address_space:  global
        .offset:         32
        .size:           8
        .value_kind:     global_buffer
      - .address_space:  global
        .offset:         40
        .size:           8
        .value_kind:     global_buffer
      - .address_space:  global
        .offset:         48
        .size:           8
        .value_kind:     global_buffer
      - .address_space:  global
        .offset:         56
        .size:           8
        .value_kind:     global_buffer
      - .address_space:  global
        .offset:         64
        .size:           8
        .value_kind:     global_buffer
      - .offset:         72
        .size:           8
        .value_kind:     by_value
      - .offset:         80
        .size:           4
        .value_kind:     by_value
      - .offset:         84
        .size:           4
        .value_kind:     by_value
      - .offset:         88
        .size:           8
        .value_kind:     by_value
      - .offset:         96
        .size:           8
        .value_kind:     by_value
      - .offset:         104
        .size:           8
        .value_kind:     by_value
      - .offset:         112
        .size:           8
        .value_kind:     by_value
      - .offset:         120
        .size:           1
        .value_kind:     by_value
    .group_segment_fixed_size: 16384
    .kernarg_segment_align: 8
    .kernarg_segment_size: 124
    .language:       OpenCL C
    .language_version:
      - 2
      - 0
    .max_flat_workgroup_size: 256
    .name:           _ZN9rocsparseL12csrilu0_hashILj256ELj64ELj8EfEEviPKiS2_PT2_S2_PiS2_S5_S5_d21rocsparse_index_base_imNS_24const_host_device_scalarIfEENS7_IdEENS7_IS3_EEb
    .private_segment_fixed_size: 0
    .sgpr_count:     66
    .sgpr_spill_count: 0
    .symbol:         _ZN9rocsparseL12csrilu0_hashILj256ELj64ELj8EfEEviPKiS2_PT2_S2_PiS2_S5_S5_d21rocsparse_index_base_imNS_24const_host_device_scalarIfEENS7_IdEENS7_IS3_EEb.kd
    .uniform_work_group_size: 1
    .uses_dynamic_stack: false
    .vgpr_count:     30
    .vgpr_spill_count: 0
    .wavefront_size: 64
  - .args:
      - .offset:         0
        .size:           4
        .value_kind:     by_value
      - .address_space:  global
        .offset:         8
        .size:           8
        .value_kind:     global_buffer
      - .address_space:  global
        .offset:         16
        .size:           8
        .value_kind:     global_buffer
      - .address_space:  global
        .offset:         24
        .size:           8
        .value_kind:     global_buffer
      - .address_space:  global
        .offset:         32
        .size:           8
        .value_kind:     global_buffer
      - .address_space:  global
        .offset:         40
        .size:           8
        .value_kind:     global_buffer
      - .address_space:  global
        .offset:         48
        .size:           8
        .value_kind:     global_buffer
      - .address_space:  global
        .offset:         56
        .size:           8
        .value_kind:     global_buffer
      - .address_space:  global
        .offset:         64
        .size:           8
        .value_kind:     global_buffer
      - .offset:         72
        .size:           8
        .value_kind:     by_value
      - .offset:         80
        .size:           4
        .value_kind:     by_value
      - .offset:         84
        .size:           4
        .value_kind:     by_value
      - .offset:         88
        .size:           8
        .value_kind:     by_value
      - .offset:         96
        .size:           8
        .value_kind:     by_value
      - .offset:         104
        .size:           8
        .value_kind:     by_value
      - .offset:         112
        .size:           8
        .value_kind:     by_value
      - .offset:         120
        .size:           1
        .value_kind:     by_value
    .group_segment_fixed_size: 32768
    .kernarg_segment_align: 8
    .kernarg_segment_size: 124
    .language:       OpenCL C
    .language_version:
      - 2
      - 0
    .max_flat_workgroup_size: 256
    .name:           _ZN9rocsparseL12csrilu0_hashILj256ELj64ELj16EfEEviPKiS2_PT2_S2_PiS2_S5_S5_d21rocsparse_index_base_imNS_24const_host_device_scalarIfEENS7_IdEENS7_IS3_EEb
    .private_segment_fixed_size: 0
    .sgpr_count:     66
    .sgpr_spill_count: 0
    .symbol:         _ZN9rocsparseL12csrilu0_hashILj256ELj64ELj16EfEEviPKiS2_PT2_S2_PiS2_S5_S5_d21rocsparse_index_base_imNS_24const_host_device_scalarIfEENS7_IdEENS7_IS3_EEb.kd
    .uniform_work_group_size: 1
    .uses_dynamic_stack: false
    .vgpr_count:     30
    .vgpr_spill_count: 0
    .wavefront_size: 64
  - .args:
      - .offset:         0
        .size:           4
        .value_kind:     by_value
      - .address_space:  global
        .offset:         8
        .size:           8
        .value_kind:     global_buffer
      - .address_space:  global
        .offset:         16
        .size:           8
        .value_kind:     global_buffer
      - .address_space:  global
        .offset:         24
        .size:           8
        .value_kind:     global_buffer
      - .address_space:  global
        .offset:         32
        .size:           8
        .value_kind:     global_buffer
      - .address_space:  global
        .offset:         40
        .size:           8
        .value_kind:     global_buffer
      - .address_space:  global
        .offset:         48
        .size:           8
        .value_kind:     global_buffer
      - .address_space:  global
        .offset:         56
        .size:           8
        .value_kind:     global_buffer
      - .address_space:  global
        .offset:         64
        .size:           8
        .value_kind:     global_buffer
      - .offset:         72
        .size:           8
        .value_kind:     by_value
      - .offset:         80
        .size:           4
        .value_kind:     by_value
      - .offset:         84
        .size:           4
        .value_kind:     by_value
      - .offset:         88
        .size:           8
        .value_kind:     by_value
      - .offset:         96
        .size:           8
        .value_kind:     by_value
      - .offset:         104
        .size:           8
        .value_kind:     by_value
      - .offset:         112
        .size:           8
        .value_kind:     by_value
      - .offset:         120
        .size:           1
        .value_kind:     by_value
    .group_segment_fixed_size: 0
    .kernarg_segment_align: 8
    .kernarg_segment_size: 124
    .language:       OpenCL C
    .language_version:
      - 2
      - 0
    .max_flat_workgroup_size: 256
    .name:           _ZN9rocsparseL17csrilu0_binsearchILj256ELj64ELb0EfEEviPKiS2_PT2_S2_PiS2_S5_S5_d21rocsparse_index_base_imNS_24const_host_device_scalarIfEENS7_IdEENS7_IS3_EEb
    .private_segment_fixed_size: 0
    .sgpr_count:     42
    .sgpr_spill_count: 0
    .symbol:         _ZN9rocsparseL17csrilu0_binsearchILj256ELj64ELb0EfEEviPKiS2_PT2_S2_PiS2_S5_S5_d21rocsparse_index_base_imNS_24const_host_device_scalarIfEENS7_IdEENS7_IS3_EEb.kd
    .uniform_work_group_size: 1
    .uses_dynamic_stack: false
    .vgpr_count:     30
    .vgpr_spill_count: 0
    .wavefront_size: 64
  - .args:
      - .offset:         0
        .size:           4
        .value_kind:     by_value
      - .address_space:  global
        .offset:         8
        .size:           8
        .value_kind:     global_buffer
      - .address_space:  global
        .offset:         16
        .size:           8
        .value_kind:     global_buffer
      - .address_space:  global
        .offset:         24
        .size:           8
        .value_kind:     global_buffer
      - .address_space:  global
        .offset:         32
        .size:           8
        .value_kind:     global_buffer
      - .address_space:  global
        .offset:         40
        .size:           8
        .value_kind:     global_buffer
      - .address_space:  global
        .offset:         48
        .size:           8
        .value_kind:     global_buffer
      - .address_space:  global
        .offset:         56
        .size:           8
        .value_kind:     global_buffer
      - .address_space:  global
        .offset:         64
        .size:           8
        .value_kind:     global_buffer
      - .offset:         72
        .size:           8
        .value_kind:     by_value
      - .offset:         80
        .size:           4
        .value_kind:     by_value
      - .offset:         84
        .size:           4
        .value_kind:     by_value
      - .offset:         88
        .size:           8
        .value_kind:     by_value
      - .offset:         96
        .size:           8
        .value_kind:     by_value
      - .offset:         104
        .size:           8
        .value_kind:     by_value
      - .offset:         112
        .size:           8
        .value_kind:     by_value
      - .offset:         120
        .size:           1
        .value_kind:     by_value
    .group_segment_fixed_size: 0
    .kernarg_segment_align: 8
    .kernarg_segment_size: 124
    .language:       OpenCL C
    .language_version:
      - 2
      - 0
    .max_flat_workgroup_size: 256
    .name:           _ZN9rocsparseL17csrilu0_binsearchILj256ELj64ELb1EdEEviPKiS2_PT2_S2_PiS2_S5_S5_d21rocsparse_index_base_imNS_24const_host_device_scalarIfEENS7_IdEENS7_IS3_EEb
    .private_segment_fixed_size: 0
    .sgpr_count:     42
    .sgpr_spill_count: 0
    .symbol:         _ZN9rocsparseL17csrilu0_binsearchILj256ELj64ELb1EdEEviPKiS2_PT2_S2_PiS2_S5_S5_d21rocsparse_index_base_imNS_24const_host_device_scalarIfEENS7_IdEENS7_IS3_EEb.kd
    .uniform_work_group_size: 1
    .uses_dynamic_stack: false
    .vgpr_count:     35
    .vgpr_spill_count: 0
    .wavefront_size: 64
  - .args:
      - .offset:         0
        .size:           4
        .value_kind:     by_value
      - .address_space:  global
        .offset:         8
        .size:           8
        .value_kind:     global_buffer
      - .address_space:  global
        .offset:         16
        .size:           8
        .value_kind:     global_buffer
      - .address_space:  global
        .offset:         24
        .size:           8
        .value_kind:     global_buffer
      - .address_space:  global
        .offset:         32
        .size:           8
        .value_kind:     global_buffer
      - .address_space:  global
        .offset:         40
        .size:           8
        .value_kind:     global_buffer
      - .address_space:  global
        .offset:         48
        .size:           8
        .value_kind:     global_buffer
      - .address_space:  global
        .offset:         56
        .size:           8
        .value_kind:     global_buffer
      - .address_space:  global
        .offset:         64
        .size:           8
        .value_kind:     global_buffer
      - .offset:         72
        .size:           8
        .value_kind:     by_value
      - .offset:         80
        .size:           4
        .value_kind:     by_value
      - .offset:         84
        .size:           4
        .value_kind:     by_value
      - .offset:         88
        .size:           8
        .value_kind:     by_value
      - .offset:         96
        .size:           8
        .value_kind:     by_value
      - .offset:         104
        .size:           8
        .value_kind:     by_value
      - .offset:         112
        .size:           8
        .value_kind:     by_value
      - .offset:         120
        .size:           1
        .value_kind:     by_value
    .group_segment_fixed_size: 2048
    .kernarg_segment_align: 8
    .kernarg_segment_size: 124
    .language:       OpenCL C
    .language_version:
      - 2
      - 0
    .max_flat_workgroup_size: 256
    .name:           _ZN9rocsparseL12csrilu0_hashILj256ELj32ELj1EdEEviPKiS2_PT2_S2_PiS2_S5_S5_d21rocsparse_index_base_imNS_24const_host_device_scalarIfEENS7_IdEENS7_IS3_EEb
    .private_segment_fixed_size: 0
    .sgpr_count:     66
    .sgpr_spill_count: 0
    .symbol:         _ZN9rocsparseL12csrilu0_hashILj256ELj32ELj1EdEEviPKiS2_PT2_S2_PiS2_S5_S5_d21rocsparse_index_base_imNS_24const_host_device_scalarIfEENS7_IdEENS7_IS3_EEb.kd
    .uniform_work_group_size: 1
    .uses_dynamic_stack: false
    .vgpr_count:     35
    .vgpr_spill_count: 0
    .wavefront_size: 64
  - .args:
      - .offset:         0
        .size:           4
        .value_kind:     by_value
      - .address_space:  global
        .offset:         8
        .size:           8
        .value_kind:     global_buffer
      - .address_space:  global
        .offset:         16
        .size:           8
        .value_kind:     global_buffer
      - .address_space:  global
        .offset:         24
        .size:           8
        .value_kind:     global_buffer
      - .address_space:  global
        .offset:         32
        .size:           8
        .value_kind:     global_buffer
      - .address_space:  global
        .offset:         40
        .size:           8
        .value_kind:     global_buffer
      - .address_space:  global
        .offset:         48
        .size:           8
        .value_kind:     global_buffer
      - .address_space:  global
        .offset:         56
        .size:           8
        .value_kind:     global_buffer
      - .address_space:  global
        .offset:         64
        .size:           8
        .value_kind:     global_buffer
      - .offset:         72
        .size:           8
        .value_kind:     by_value
      - .offset:         80
        .size:           4
        .value_kind:     by_value
      - .offset:         84
        .size:           4
        .value_kind:     by_value
      - .offset:         88
        .size:           8
        .value_kind:     by_value
      - .offset:         96
        .size:           8
        .value_kind:     by_value
      - .offset:         104
        .size:           8
        .value_kind:     by_value
      - .offset:         112
        .size:           8
        .value_kind:     by_value
      - .offset:         120
        .size:           1
        .value_kind:     by_value
    .group_segment_fixed_size: 4096
    .kernarg_segment_align: 8
    .kernarg_segment_size: 124
    .language:       OpenCL C
    .language_version:
      - 2
      - 0
    .max_flat_workgroup_size: 256
    .name:           _ZN9rocsparseL12csrilu0_hashILj256ELj32ELj2EdEEviPKiS2_PT2_S2_PiS2_S5_S5_d21rocsparse_index_base_imNS_24const_host_device_scalarIfEENS7_IdEENS7_IS3_EEb
    .private_segment_fixed_size: 0
    .sgpr_count:     66
    .sgpr_spill_count: 0
    .symbol:         _ZN9rocsparseL12csrilu0_hashILj256ELj32ELj2EdEEviPKiS2_PT2_S2_PiS2_S5_S5_d21rocsparse_index_base_imNS_24const_host_device_scalarIfEENS7_IdEENS7_IS3_EEb.kd
    .uniform_work_group_size: 1
    .uses_dynamic_stack: false
    .vgpr_count:     35
    .vgpr_spill_count: 0
    .wavefront_size: 64
  - .args:
      - .offset:         0
        .size:           4
        .value_kind:     by_value
      - .address_space:  global
        .offset:         8
        .size:           8
        .value_kind:     global_buffer
      - .address_space:  global
        .offset:         16
        .size:           8
        .value_kind:     global_buffer
      - .address_space:  global
        .offset:         24
        .size:           8
        .value_kind:     global_buffer
      - .address_space:  global
        .offset:         32
        .size:           8
        .value_kind:     global_buffer
      - .address_space:  global
        .offset:         40
        .size:           8
        .value_kind:     global_buffer
      - .address_space:  global
        .offset:         48
        .size:           8
        .value_kind:     global_buffer
      - .address_space:  global
        .offset:         56
        .size:           8
        .value_kind:     global_buffer
      - .address_space:  global
        .offset:         64
        .size:           8
        .value_kind:     global_buffer
      - .offset:         72
        .size:           8
        .value_kind:     by_value
      - .offset:         80
        .size:           4
        .value_kind:     by_value
      - .offset:         84
        .size:           4
        .value_kind:     by_value
      - .offset:         88
        .size:           8
        .value_kind:     by_value
      - .offset:         96
        .size:           8
        .value_kind:     by_value
      - .offset:         104
        .size:           8
        .value_kind:     by_value
      - .offset:         112
        .size:           8
        .value_kind:     by_value
      - .offset:         120
        .size:           1
        .value_kind:     by_value
    .group_segment_fixed_size: 8192
    .kernarg_segment_align: 8
    .kernarg_segment_size: 124
    .language:       OpenCL C
    .language_version:
      - 2
      - 0
    .max_flat_workgroup_size: 256
    .name:           _ZN9rocsparseL12csrilu0_hashILj256ELj32ELj4EdEEviPKiS2_PT2_S2_PiS2_S5_S5_d21rocsparse_index_base_imNS_24const_host_device_scalarIfEENS7_IdEENS7_IS3_EEb
    .private_segment_fixed_size: 0
    .sgpr_count:     66
    .sgpr_spill_count: 0
    .symbol:         _ZN9rocsparseL12csrilu0_hashILj256ELj32ELj4EdEEviPKiS2_PT2_S2_PiS2_S5_S5_d21rocsparse_index_base_imNS_24const_host_device_scalarIfEENS7_IdEENS7_IS3_EEb.kd
    .uniform_work_group_size: 1
    .uses_dynamic_stack: false
    .vgpr_count:     35
    .vgpr_spill_count: 0
    .wavefront_size: 64
  - .args:
      - .offset:         0
        .size:           4
        .value_kind:     by_value
      - .address_space:  global
        .offset:         8
        .size:           8
        .value_kind:     global_buffer
      - .address_space:  global
        .offset:         16
        .size:           8
        .value_kind:     global_buffer
      - .address_space:  global
        .offset:         24
        .size:           8
        .value_kind:     global_buffer
      - .address_space:  global
        .offset:         32
        .size:           8
        .value_kind:     global_buffer
      - .address_space:  global
        .offset:         40
        .size:           8
        .value_kind:     global_buffer
      - .address_space:  global
        .offset:         48
        .size:           8
        .value_kind:     global_buffer
      - .address_space:  global
        .offset:         56
        .size:           8
        .value_kind:     global_buffer
      - .address_space:  global
        .offset:         64
        .size:           8
        .value_kind:     global_buffer
      - .offset:         72
        .size:           8
        .value_kind:     by_value
      - .offset:         80
        .size:           4
        .value_kind:     by_value
      - .offset:         84
        .size:           4
        .value_kind:     by_value
      - .offset:         88
        .size:           8
        .value_kind:     by_value
      - .offset:         96
        .size:           8
        .value_kind:     by_value
      - .offset:         104
        .size:           8
        .value_kind:     by_value
      - .offset:         112
        .size:           8
        .value_kind:     by_value
      - .offset:         120
        .size:           1
        .value_kind:     by_value
    .group_segment_fixed_size: 16384
    .kernarg_segment_align: 8
    .kernarg_segment_size: 124
    .language:       OpenCL C
    .language_version:
      - 2
      - 0
    .max_flat_workgroup_size: 256
    .name:           _ZN9rocsparseL12csrilu0_hashILj256ELj32ELj8EdEEviPKiS2_PT2_S2_PiS2_S5_S5_d21rocsparse_index_base_imNS_24const_host_device_scalarIfEENS7_IdEENS7_IS3_EEb
    .private_segment_fixed_size: 0
    .sgpr_count:     66
    .sgpr_spill_count: 0
    .symbol:         _ZN9rocsparseL12csrilu0_hashILj256ELj32ELj8EdEEviPKiS2_PT2_S2_PiS2_S5_S5_d21rocsparse_index_base_imNS_24const_host_device_scalarIfEENS7_IdEENS7_IS3_EEb.kd
    .uniform_work_group_size: 1
    .uses_dynamic_stack: false
    .vgpr_count:     36
    .vgpr_spill_count: 0
    .wavefront_size: 64
  - .args:
      - .offset:         0
        .size:           4
        .value_kind:     by_value
      - .address_space:  global
        .offset:         8
        .size:           8
        .value_kind:     global_buffer
      - .address_space:  global
        .offset:         16
        .size:           8
        .value_kind:     global_buffer
      - .address_space:  global
        .offset:         24
        .size:           8
        .value_kind:     global_buffer
      - .address_space:  global
        .offset:         32
        .size:           8
        .value_kind:     global_buffer
      - .address_space:  global
        .offset:         40
        .size:           8
        .value_kind:     global_buffer
      - .address_space:  global
        .offset:         48
        .size:           8
        .value_kind:     global_buffer
      - .address_space:  global
        .offset:         56
        .size:           8
        .value_kind:     global_buffer
      - .address_space:  global
        .offset:         64
        .size:           8
        .value_kind:     global_buffer
      - .offset:         72
        .size:           8
        .value_kind:     by_value
      - .offset:         80
        .size:           4
        .value_kind:     by_value
      - .offset:         84
        .size:           4
        .value_kind:     by_value
      - .offset:         88
        .size:           8
        .value_kind:     by_value
      - .offset:         96
        .size:           8
        .value_kind:     by_value
      - .offset:         104
        .size:           8
        .value_kind:     by_value
      - .offset:         112
        .size:           8
        .value_kind:     by_value
      - .offset:         120
        .size:           1
        .value_kind:     by_value
    .group_segment_fixed_size: 32768
    .kernarg_segment_align: 8
    .kernarg_segment_size: 124
    .language:       OpenCL C
    .language_version:
      - 2
      - 0
    .max_flat_workgroup_size: 256
    .name:           _ZN9rocsparseL12csrilu0_hashILj256ELj32ELj16EdEEviPKiS2_PT2_S2_PiS2_S5_S5_d21rocsparse_index_base_imNS_24const_host_device_scalarIfEENS7_IdEENS7_IS3_EEb
    .private_segment_fixed_size: 0
    .sgpr_count:     66
    .sgpr_spill_count: 0
    .symbol:         _ZN9rocsparseL12csrilu0_hashILj256ELj32ELj16EdEEviPKiS2_PT2_S2_PiS2_S5_S5_d21rocsparse_index_base_imNS_24const_host_device_scalarIfEENS7_IdEENS7_IS3_EEb.kd
    .uniform_work_group_size: 1
    .uses_dynamic_stack: false
    .vgpr_count:     36
    .vgpr_spill_count: 0
    .wavefront_size: 64
  - .args:
      - .offset:         0
        .size:           4
        .value_kind:     by_value
      - .address_space:  global
        .offset:         8
        .size:           8
        .value_kind:     global_buffer
      - .address_space:  global
        .offset:         16
        .size:           8
        .value_kind:     global_buffer
      - .address_space:  global
        .offset:         24
        .size:           8
        .value_kind:     global_buffer
      - .address_space:  global
        .offset:         32
        .size:           8
        .value_kind:     global_buffer
      - .address_space:  global
        .offset:         40
        .size:           8
        .value_kind:     global_buffer
      - .address_space:  global
        .offset:         48
        .size:           8
        .value_kind:     global_buffer
      - .address_space:  global
        .offset:         56
        .size:           8
        .value_kind:     global_buffer
      - .address_space:  global
        .offset:         64
        .size:           8
        .value_kind:     global_buffer
      - .offset:         72
        .size:           8
        .value_kind:     by_value
      - .offset:         80
        .size:           4
        .value_kind:     by_value
      - .offset:         84
        .size:           4
        .value_kind:     by_value
      - .offset:         88
        .size:           8
        .value_kind:     by_value
      - .offset:         96
        .size:           8
        .value_kind:     by_value
      - .offset:         104
        .size:           8
        .value_kind:     by_value
      - .offset:         112
        .size:           8
        .value_kind:     by_value
      - .offset:         120
        .size:           1
        .value_kind:     by_value
    .group_segment_fixed_size: 0
    .kernarg_segment_align: 8
    .kernarg_segment_size: 124
    .language:       OpenCL C
    .language_version:
      - 2
      - 0
    .max_flat_workgroup_size: 256
    .name:           _ZN9rocsparseL17csrilu0_binsearchILj256ELj32ELb0EdEEviPKiS2_PT2_S2_PiS2_S5_S5_d21rocsparse_index_base_imNS_24const_host_device_scalarIfEENS7_IdEENS7_IS3_EEb
    .private_segment_fixed_size: 0
    .sgpr_count:     42
    .sgpr_spill_count: 0
    .symbol:         _ZN9rocsparseL17csrilu0_binsearchILj256ELj32ELb0EdEEviPKiS2_PT2_S2_PiS2_S5_S5_d21rocsparse_index_base_imNS_24const_host_device_scalarIfEENS7_IdEENS7_IS3_EEb.kd
    .uniform_work_group_size: 1
    .uses_dynamic_stack: false
    .vgpr_count:     35
    .vgpr_spill_count: 0
    .wavefront_size: 64
  - .args:
      - .offset:         0
        .size:           4
        .value_kind:     by_value
      - .address_space:  global
        .offset:         8
        .size:           8
        .value_kind:     global_buffer
      - .address_space:  global
        .offset:         16
        .size:           8
        .value_kind:     global_buffer
      - .address_space:  global
        .offset:         24
        .size:           8
        .value_kind:     global_buffer
      - .address_space:  global
        .offset:         32
        .size:           8
        .value_kind:     global_buffer
      - .address_space:  global
        .offset:         40
        .size:           8
        .value_kind:     global_buffer
      - .address_space:  global
        .offset:         48
        .size:           8
        .value_kind:     global_buffer
      - .address_space:  global
        .offset:         56
        .size:           8
        .value_kind:     global_buffer
      - .address_space:  global
        .offset:         64
        .size:           8
        .value_kind:     global_buffer
      - .offset:         72
        .size:           8
        .value_kind:     by_value
      - .offset:         80
        .size:           4
        .value_kind:     by_value
      - .offset:         84
        .size:           4
        .value_kind:     by_value
      - .offset:         88
        .size:           8
        .value_kind:     by_value
      - .offset:         96
        .size:           8
        .value_kind:     by_value
      - .offset:         104
        .size:           8
        .value_kind:     by_value
      - .offset:         112
        .size:           8
        .value_kind:     by_value
      - .offset:         120
        .size:           1
        .value_kind:     by_value
    .group_segment_fixed_size: 2048
    .kernarg_segment_align: 8
    .kernarg_segment_size: 124
    .language:       OpenCL C
    .language_version:
      - 2
      - 0
    .max_flat_workgroup_size: 256
    .name:           _ZN9rocsparseL12csrilu0_hashILj256ELj64ELj1EdEEviPKiS2_PT2_S2_PiS2_S5_S5_d21rocsparse_index_base_imNS_24const_host_device_scalarIfEENS7_IdEENS7_IS3_EEb
    .private_segment_fixed_size: 0
    .sgpr_count:     66
    .sgpr_spill_count: 0
    .symbol:         _ZN9rocsparseL12csrilu0_hashILj256ELj64ELj1EdEEviPKiS2_PT2_S2_PiS2_S5_S5_d21rocsparse_index_base_imNS_24const_host_device_scalarIfEENS7_IdEENS7_IS3_EEb.kd
    .uniform_work_group_size: 1
    .uses_dynamic_stack: false
    .vgpr_count:     35
    .vgpr_spill_count: 0
    .wavefront_size: 64
  - .args:
      - .offset:         0
        .size:           4
        .value_kind:     by_value
      - .address_space:  global
        .offset:         8
        .size:           8
        .value_kind:     global_buffer
      - .address_space:  global
        .offset:         16
        .size:           8
        .value_kind:     global_buffer
      - .address_space:  global
        .offset:         24
        .size:           8
        .value_kind:     global_buffer
      - .address_space:  global
        .offset:         32
        .size:           8
        .value_kind:     global_buffer
      - .address_space:  global
        .offset:         40
        .size:           8
        .value_kind:     global_buffer
      - .address_space:  global
        .offset:         48
        .size:           8
        .value_kind:     global_buffer
      - .address_space:  global
        .offset:         56
        .size:           8
        .value_kind:     global_buffer
      - .address_space:  global
        .offset:         64
        .size:           8
        .value_kind:     global_buffer
      - .offset:         72
        .size:           8
        .value_kind:     by_value
      - .offset:         80
        .size:           4
        .value_kind:     by_value
      - .offset:         84
        .size:           4
        .value_kind:     by_value
      - .offset:         88
        .size:           8
        .value_kind:     by_value
      - .offset:         96
        .size:           8
        .value_kind:     by_value
      - .offset:         104
        .size:           8
        .value_kind:     by_value
      - .offset:         112
        .size:           8
        .value_kind:     by_value
      - .offset:         120
        .size:           1
        .value_kind:     by_value
    .group_segment_fixed_size: 4096
    .kernarg_segment_align: 8
    .kernarg_segment_size: 124
    .language:       OpenCL C
    .language_version:
      - 2
      - 0
    .max_flat_workgroup_size: 256
    .name:           _ZN9rocsparseL12csrilu0_hashILj256ELj64ELj2EdEEviPKiS2_PT2_S2_PiS2_S5_S5_d21rocsparse_index_base_imNS_24const_host_device_scalarIfEENS7_IdEENS7_IS3_EEb
    .private_segment_fixed_size: 0
    .sgpr_count:     66
    .sgpr_spill_count: 0
    .symbol:         _ZN9rocsparseL12csrilu0_hashILj256ELj64ELj2EdEEviPKiS2_PT2_S2_PiS2_S5_S5_d21rocsparse_index_base_imNS_24const_host_device_scalarIfEENS7_IdEENS7_IS3_EEb.kd
    .uniform_work_group_size: 1
    .uses_dynamic_stack: false
    .vgpr_count:     35
    .vgpr_spill_count: 0
    .wavefront_size: 64
  - .args:
      - .offset:         0
        .size:           4
        .value_kind:     by_value
      - .address_space:  global
        .offset:         8
        .size:           8
        .value_kind:     global_buffer
      - .address_space:  global
        .offset:         16
        .size:           8
        .value_kind:     global_buffer
      - .address_space:  global
        .offset:         24
        .size:           8
        .value_kind:     global_buffer
      - .address_space:  global
        .offset:         32
        .size:           8
        .value_kind:     global_buffer
      - .address_space:  global
        .offset:         40
        .size:           8
        .value_kind:     global_buffer
      - .address_space:  global
        .offset:         48
        .size:           8
        .value_kind:     global_buffer
      - .address_space:  global
        .offset:         56
        .size:           8
        .value_kind:     global_buffer
      - .address_space:  global
        .offset:         64
        .size:           8
        .value_kind:     global_buffer
      - .offset:         72
        .size:           8
        .value_kind:     by_value
      - .offset:         80
        .size:           4
        .value_kind:     by_value
      - .offset:         84
        .size:           4
        .value_kind:     by_value
      - .offset:         88
        .size:           8
        .value_kind:     by_value
      - .offset:         96
        .size:           8
        .value_kind:     by_value
      - .offset:         104
        .size:           8
        .value_kind:     by_value
      - .offset:         112
        .size:           8
        .value_kind:     by_value
      - .offset:         120
        .size:           1
        .value_kind:     by_value
    .group_segment_fixed_size: 8192
    .kernarg_segment_align: 8
    .kernarg_segment_size: 124
    .language:       OpenCL C
    .language_version:
      - 2
      - 0
    .max_flat_workgroup_size: 256
    .name:           _ZN9rocsparseL12csrilu0_hashILj256ELj64ELj4EdEEviPKiS2_PT2_S2_PiS2_S5_S5_d21rocsparse_index_base_imNS_24const_host_device_scalarIfEENS7_IdEENS7_IS3_EEb
    .private_segment_fixed_size: 0
    .sgpr_count:     66
    .sgpr_spill_count: 0
    .symbol:         _ZN9rocsparseL12csrilu0_hashILj256ELj64ELj4EdEEviPKiS2_PT2_S2_PiS2_S5_S5_d21rocsparse_index_base_imNS_24const_host_device_scalarIfEENS7_IdEENS7_IS3_EEb.kd
    .uniform_work_group_size: 1
    .uses_dynamic_stack: false
    .vgpr_count:     35
    .vgpr_spill_count: 0
    .wavefront_size: 64
  - .args:
      - .offset:         0
        .size:           4
        .value_kind:     by_value
      - .address_space:  global
        .offset:         8
        .size:           8
        .value_kind:     global_buffer
      - .address_space:  global
        .offset:         16
        .size:           8
        .value_kind:     global_buffer
      - .address_space:  global
        .offset:         24
        .size:           8
        .value_kind:     global_buffer
      - .address_space:  global
        .offset:         32
        .size:           8
        .value_kind:     global_buffer
      - .address_space:  global
        .offset:         40
        .size:           8
        .value_kind:     global_buffer
      - .address_space:  global
        .offset:         48
        .size:           8
        .value_kind:     global_buffer
      - .address_space:  global
        .offset:         56
        .size:           8
        .value_kind:     global_buffer
      - .address_space:  global
        .offset:         64
        .size:           8
        .value_kind:     global_buffer
      - .offset:         72
        .size:           8
        .value_kind:     by_value
      - .offset:         80
        .size:           4
        .value_kind:     by_value
      - .offset:         84
        .size:           4
        .value_kind:     by_value
      - .offset:         88
        .size:           8
        .value_kind:     by_value
      - .offset:         96
        .size:           8
        .value_kind:     by_value
      - .offset:         104
        .size:           8
        .value_kind:     by_value
      - .offset:         112
        .size:           8
        .value_kind:     by_value
      - .offset:         120
        .size:           1
        .value_kind:     by_value
    .group_segment_fixed_size: 16384
    .kernarg_segment_align: 8
    .kernarg_segment_size: 124
    .language:       OpenCL C
    .language_version:
      - 2
      - 0
    .max_flat_workgroup_size: 256
    .name:           _ZN9rocsparseL12csrilu0_hashILj256ELj64ELj8EdEEviPKiS2_PT2_S2_PiS2_S5_S5_d21rocsparse_index_base_imNS_24const_host_device_scalarIfEENS7_IdEENS7_IS3_EEb
    .private_segment_fixed_size: 0
    .sgpr_count:     66
    .sgpr_spill_count: 0
    .symbol:         _ZN9rocsparseL12csrilu0_hashILj256ELj64ELj8EdEEviPKiS2_PT2_S2_PiS2_S5_S5_d21rocsparse_index_base_imNS_24const_host_device_scalarIfEENS7_IdEENS7_IS3_EEb.kd
    .uniform_work_group_size: 1
    .uses_dynamic_stack: false
    .vgpr_count:     36
    .vgpr_spill_count: 0
    .wavefront_size: 64
  - .args:
      - .offset:         0
        .size:           4
        .value_kind:     by_value
      - .address_space:  global
        .offset:         8
        .size:           8
        .value_kind:     global_buffer
      - .address_space:  global
        .offset:         16
        .size:           8
        .value_kind:     global_buffer
      - .address_space:  global
        .offset:         24
        .size:           8
        .value_kind:     global_buffer
      - .address_space:  global
        .offset:         32
        .size:           8
        .value_kind:     global_buffer
      - .address_space:  global
        .offset:         40
        .size:           8
        .value_kind:     global_buffer
      - .address_space:  global
        .offset:         48
        .size:           8
        .value_kind:     global_buffer
      - .address_space:  global
        .offset:         56
        .size:           8
        .value_kind:     global_buffer
      - .address_space:  global
        .offset:         64
        .size:           8
        .value_kind:     global_buffer
      - .offset:         72
        .size:           8
        .value_kind:     by_value
      - .offset:         80
        .size:           4
        .value_kind:     by_value
      - .offset:         84
        .size:           4
        .value_kind:     by_value
      - .offset:         88
        .size:           8
        .value_kind:     by_value
      - .offset:         96
        .size:           8
        .value_kind:     by_value
      - .offset:         104
        .size:           8
        .value_kind:     by_value
      - .offset:         112
        .size:           8
        .value_kind:     by_value
      - .offset:         120
        .size:           1
        .value_kind:     by_value
    .group_segment_fixed_size: 32768
    .kernarg_segment_align: 8
    .kernarg_segment_size: 124
    .language:       OpenCL C
    .language_version:
      - 2
      - 0
    .max_flat_workgroup_size: 256
    .name:           _ZN9rocsparseL12csrilu0_hashILj256ELj64ELj16EdEEviPKiS2_PT2_S2_PiS2_S5_S5_d21rocsparse_index_base_imNS_24const_host_device_scalarIfEENS7_IdEENS7_IS3_EEb
    .private_segment_fixed_size: 0
    .sgpr_count:     66
    .sgpr_spill_count: 0
    .symbol:         _ZN9rocsparseL12csrilu0_hashILj256ELj64ELj16EdEEviPKiS2_PT2_S2_PiS2_S5_S5_d21rocsparse_index_base_imNS_24const_host_device_scalarIfEENS7_IdEENS7_IS3_EEb.kd
    .uniform_work_group_size: 1
    .uses_dynamic_stack: false
    .vgpr_count:     36
    .vgpr_spill_count: 0
    .wavefront_size: 64
  - .args:
      - .offset:         0
        .size:           4
        .value_kind:     by_value
      - .address_space:  global
        .offset:         8
        .size:           8
        .value_kind:     global_buffer
      - .address_space:  global
        .offset:         16
        .size:           8
        .value_kind:     global_buffer
      - .address_space:  global
        .offset:         24
        .size:           8
        .value_kind:     global_buffer
      - .address_space:  global
        .offset:         32
        .size:           8
        .value_kind:     global_buffer
      - .address_space:  global
        .offset:         40
        .size:           8
        .value_kind:     global_buffer
      - .address_space:  global
        .offset:         48
        .size:           8
        .value_kind:     global_buffer
      - .address_space:  global
        .offset:         56
        .size:           8
        .value_kind:     global_buffer
      - .address_space:  global
        .offset:         64
        .size:           8
        .value_kind:     global_buffer
      - .offset:         72
        .size:           8
        .value_kind:     by_value
      - .offset:         80
        .size:           4
        .value_kind:     by_value
      - .offset:         84
        .size:           4
        .value_kind:     by_value
      - .offset:         88
        .size:           8
        .value_kind:     by_value
      - .offset:         96
        .size:           8
        .value_kind:     by_value
      - .offset:         104
        .size:           8
        .value_kind:     by_value
      - .offset:         112
        .size:           8
        .value_kind:     by_value
      - .offset:         120
        .size:           1
        .value_kind:     by_value
    .group_segment_fixed_size: 0
    .kernarg_segment_align: 8
    .kernarg_segment_size: 124
    .language:       OpenCL C
    .language_version:
      - 2
      - 0
    .max_flat_workgroup_size: 256
    .name:           _ZN9rocsparseL17csrilu0_binsearchILj256ELj64ELb0EdEEviPKiS2_PT2_S2_PiS2_S5_S5_d21rocsparse_index_base_imNS_24const_host_device_scalarIfEENS7_IdEENS7_IS3_EEb
    .private_segment_fixed_size: 0
    .sgpr_count:     42
    .sgpr_spill_count: 0
    .symbol:         _ZN9rocsparseL17csrilu0_binsearchILj256ELj64ELb0EdEEviPKiS2_PT2_S2_PiS2_S5_S5_d21rocsparse_index_base_imNS_24const_host_device_scalarIfEENS7_IdEENS7_IS3_EEb.kd
    .uniform_work_group_size: 1
    .uses_dynamic_stack: false
    .vgpr_count:     35
    .vgpr_spill_count: 0
    .wavefront_size: 64
  - .args:
      - .offset:         0
        .size:           4
        .value_kind:     by_value
      - .address_space:  global
        .offset:         8
        .size:           8
        .value_kind:     global_buffer
      - .address_space:  global
        .offset:         16
        .size:           8
        .value_kind:     global_buffer
      - .address_space:  global
        .offset:         24
        .size:           8
        .value_kind:     global_buffer
      - .address_space:  global
        .offset:         32
        .size:           8
        .value_kind:     global_buffer
      - .address_space:  global
        .offset:         40
        .size:           8
        .value_kind:     global_buffer
      - .address_space:  global
        .offset:         48
        .size:           8
        .value_kind:     global_buffer
      - .address_space:  global
        .offset:         56
        .size:           8
        .value_kind:     global_buffer
      - .address_space:  global
        .offset:         64
        .size:           8
        .value_kind:     global_buffer
      - .offset:         72
        .size:           8
        .value_kind:     by_value
      - .offset:         80
        .size:           4
        .value_kind:     by_value
      - .offset:         84
        .size:           4
        .value_kind:     by_value
      - .offset:         88
        .size:           8
        .value_kind:     by_value
      - .offset:         96
        .size:           8
        .value_kind:     by_value
      - .offset:         104
        .size:           8
        .value_kind:     by_value
      - .offset:         112
        .size:           8
        .value_kind:     by_value
      - .offset:         120
        .size:           1
        .value_kind:     by_value
    .group_segment_fixed_size: 0
    .kernarg_segment_align: 8
    .kernarg_segment_size: 124
    .language:       OpenCL C
    .language_version:
      - 2
      - 0
    .max_flat_workgroup_size: 256
    .name:           _ZN9rocsparseL17csrilu0_binsearchILj256ELj64ELb1E21rocsparse_complex_numIfEEEviPKiS4_PT2_S4_PiS4_S7_S7_d21rocsparse_index_base_imNS_24const_host_device_scalarIfEENS9_IdEENS9_IS5_EEb
    .private_segment_fixed_size: 0
    .sgpr_count:     42
    .sgpr_spill_count: 0
    .symbol:         _ZN9rocsparseL17csrilu0_binsearchILj256ELj64ELb1E21rocsparse_complex_numIfEEEviPKiS4_PT2_S4_PiS4_S7_S7_d21rocsparse_index_base_imNS_24const_host_device_scalarIfEENS9_IdEENS9_IS5_EEb.kd
    .uniform_work_group_size: 1
    .uses_dynamic_stack: false
    .vgpr_count:     30
    .vgpr_spill_count: 0
    .wavefront_size: 64
  - .args:
      - .offset:         0
        .size:           4
        .value_kind:     by_value
      - .address_space:  global
        .offset:         8
        .size:           8
        .value_kind:     global_buffer
      - .address_space:  global
        .offset:         16
        .size:           8
        .value_kind:     global_buffer
      - .address_space:  global
        .offset:         24
        .size:           8
        .value_kind:     global_buffer
      - .address_space:  global
        .offset:         32
        .size:           8
        .value_kind:     global_buffer
      - .address_space:  global
        .offset:         40
        .size:           8
        .value_kind:     global_buffer
      - .address_space:  global
        .offset:         48
        .size:           8
        .value_kind:     global_buffer
      - .address_space:  global
        .offset:         56
        .size:           8
        .value_kind:     global_buffer
      - .address_space:  global
        .offset:         64
        .size:           8
        .value_kind:     global_buffer
      - .offset:         72
        .size:           8
        .value_kind:     by_value
      - .offset:         80
        .size:           4
        .value_kind:     by_value
      - .offset:         84
        .size:           4
        .value_kind:     by_value
      - .offset:         88
        .size:           8
        .value_kind:     by_value
      - .offset:         96
        .size:           8
        .value_kind:     by_value
      - .offset:         104
        .size:           8
        .value_kind:     by_value
      - .offset:         112
        .size:           8
        .value_kind:     by_value
      - .offset:         120
        .size:           1
        .value_kind:     by_value
    .group_segment_fixed_size: 2048
    .kernarg_segment_align: 8
    .kernarg_segment_size: 124
    .language:       OpenCL C
    .language_version:
      - 2
      - 0
    .max_flat_workgroup_size: 256
    .name:           _ZN9rocsparseL12csrilu0_hashILj256ELj32ELj1E21rocsparse_complex_numIfEEEviPKiS4_PT2_S4_PiS4_S7_S7_d21rocsparse_index_base_imNS_24const_host_device_scalarIfEENS9_IdEENS9_IS5_EEb
    .private_segment_fixed_size: 0
    .sgpr_count:     66
    .sgpr_spill_count: 0
    .symbol:         _ZN9rocsparseL12csrilu0_hashILj256ELj32ELj1E21rocsparse_complex_numIfEEEviPKiS4_PT2_S4_PiS4_S7_S7_d21rocsparse_index_base_imNS_24const_host_device_scalarIfEENS9_IdEENS9_IS5_EEb.kd
    .uniform_work_group_size: 1
    .uses_dynamic_stack: false
    .vgpr_count:     31
    .vgpr_spill_count: 0
    .wavefront_size: 64
  - .args:
      - .offset:         0
        .size:           4
        .value_kind:     by_value
      - .address_space:  global
        .offset:         8
        .size:           8
        .value_kind:     global_buffer
      - .address_space:  global
        .offset:         16
        .size:           8
        .value_kind:     global_buffer
      - .address_space:  global
        .offset:         24
        .size:           8
        .value_kind:     global_buffer
      - .address_space:  global
        .offset:         32
        .size:           8
        .value_kind:     global_buffer
      - .address_space:  global
        .offset:         40
        .size:           8
        .value_kind:     global_buffer
      - .address_space:  global
        .offset:         48
        .size:           8
        .value_kind:     global_buffer
      - .address_space:  global
        .offset:         56
        .size:           8
        .value_kind:     global_buffer
      - .address_space:  global
        .offset:         64
        .size:           8
        .value_kind:     global_buffer
      - .offset:         72
        .size:           8
        .value_kind:     by_value
      - .offset:         80
        .size:           4
        .value_kind:     by_value
      - .offset:         84
        .size:           4
        .value_kind:     by_value
      - .offset:         88
        .size:           8
        .value_kind:     by_value
      - .offset:         96
        .size:           8
        .value_kind:     by_value
      - .offset:         104
        .size:           8
        .value_kind:     by_value
      - .offset:         112
        .size:           8
        .value_kind:     by_value
      - .offset:         120
        .size:           1
        .value_kind:     by_value
    .group_segment_fixed_size: 4096
    .kernarg_segment_align: 8
    .kernarg_segment_size: 124
    .language:       OpenCL C
    .language_version:
      - 2
      - 0
    .max_flat_workgroup_size: 256
    .name:           _ZN9rocsparseL12csrilu0_hashILj256ELj32ELj2E21rocsparse_complex_numIfEEEviPKiS4_PT2_S4_PiS4_S7_S7_d21rocsparse_index_base_imNS_24const_host_device_scalarIfEENS9_IdEENS9_IS5_EEb
    .private_segment_fixed_size: 0
    .sgpr_count:     66
    .sgpr_spill_count: 0
    .symbol:         _ZN9rocsparseL12csrilu0_hashILj256ELj32ELj2E21rocsparse_complex_numIfEEEviPKiS4_PT2_S4_PiS4_S7_S7_d21rocsparse_index_base_imNS_24const_host_device_scalarIfEENS9_IdEENS9_IS5_EEb.kd
    .uniform_work_group_size: 1
    .uses_dynamic_stack: false
    .vgpr_count:     31
    .vgpr_spill_count: 0
    .wavefront_size: 64
  - .args:
      - .offset:         0
        .size:           4
        .value_kind:     by_value
      - .address_space:  global
        .offset:         8
        .size:           8
        .value_kind:     global_buffer
      - .address_space:  global
        .offset:         16
        .size:           8
        .value_kind:     global_buffer
      - .address_space:  global
        .offset:         24
        .size:           8
        .value_kind:     global_buffer
      - .address_space:  global
        .offset:         32
        .size:           8
        .value_kind:     global_buffer
      - .address_space:  global
        .offset:         40
        .size:           8
        .value_kind:     global_buffer
      - .address_space:  global
        .offset:         48
        .size:           8
        .value_kind:     global_buffer
      - .address_space:  global
        .offset:         56
        .size:           8
        .value_kind:     global_buffer
      - .address_space:  global
        .offset:         64
        .size:           8
        .value_kind:     global_buffer
      - .offset:         72
        .size:           8
        .value_kind:     by_value
      - .offset:         80
        .size:           4
        .value_kind:     by_value
      - .offset:         84
        .size:           4
        .value_kind:     by_value
      - .offset:         88
        .size:           8
        .value_kind:     by_value
      - .offset:         96
        .size:           8
        .value_kind:     by_value
      - .offset:         104
        .size:           8
        .value_kind:     by_value
      - .offset:         112
        .size:           8
        .value_kind:     by_value
      - .offset:         120
        .size:           1
        .value_kind:     by_value
    .group_segment_fixed_size: 8192
    .kernarg_segment_align: 8
    .kernarg_segment_size: 124
    .language:       OpenCL C
    .language_version:
      - 2
      - 0
    .max_flat_workgroup_size: 256
    .name:           _ZN9rocsparseL12csrilu0_hashILj256ELj32ELj4E21rocsparse_complex_numIfEEEviPKiS4_PT2_S4_PiS4_S7_S7_d21rocsparse_index_base_imNS_24const_host_device_scalarIfEENS9_IdEENS9_IS5_EEb
    .private_segment_fixed_size: 0
    .sgpr_count:     66
    .sgpr_spill_count: 0
    .symbol:         _ZN9rocsparseL12csrilu0_hashILj256ELj32ELj4E21rocsparse_complex_numIfEEEviPKiS4_PT2_S4_PiS4_S7_S7_d21rocsparse_index_base_imNS_24const_host_device_scalarIfEENS9_IdEENS9_IS5_EEb.kd
    .uniform_work_group_size: 1
    .uses_dynamic_stack: false
    .vgpr_count:     31
    .vgpr_spill_count: 0
    .wavefront_size: 64
  - .args:
      - .offset:         0
        .size:           4
        .value_kind:     by_value
      - .address_space:  global
        .offset:         8
        .size:           8
        .value_kind:     global_buffer
      - .address_space:  global
        .offset:         16
        .size:           8
        .value_kind:     global_buffer
      - .address_space:  global
        .offset:         24
        .size:           8
        .value_kind:     global_buffer
      - .address_space:  global
        .offset:         32
        .size:           8
        .value_kind:     global_buffer
      - .address_space:  global
        .offset:         40
        .size:           8
        .value_kind:     global_buffer
      - .address_space:  global
        .offset:         48
        .size:           8
        .value_kind:     global_buffer
      - .address_space:  global
        .offset:         56
        .size:           8
        .value_kind:     global_buffer
      - .address_space:  global
        .offset:         64
        .size:           8
        .value_kind:     global_buffer
      - .offset:         72
        .size:           8
        .value_kind:     by_value
      - .offset:         80
        .size:           4
        .value_kind:     by_value
      - .offset:         84
        .size:           4
        .value_kind:     by_value
      - .offset:         88
        .size:           8
        .value_kind:     by_value
      - .offset:         96
        .size:           8
        .value_kind:     by_value
      - .offset:         104
        .size:           8
        .value_kind:     by_value
      - .offset:         112
        .size:           8
        .value_kind:     by_value
      - .offset:         120
        .size:           1
        .value_kind:     by_value
    .group_segment_fixed_size: 16384
    .kernarg_segment_align: 8
    .kernarg_segment_size: 124
    .language:       OpenCL C
    .language_version:
      - 2
      - 0
    .max_flat_workgroup_size: 256
    .name:           _ZN9rocsparseL12csrilu0_hashILj256ELj32ELj8E21rocsparse_complex_numIfEEEviPKiS4_PT2_S4_PiS4_S7_S7_d21rocsparse_index_base_imNS_24const_host_device_scalarIfEENS9_IdEENS9_IS5_EEb
    .private_segment_fixed_size: 0
    .sgpr_count:     66
    .sgpr_spill_count: 0
    .symbol:         _ZN9rocsparseL12csrilu0_hashILj256ELj32ELj8E21rocsparse_complex_numIfEEEviPKiS4_PT2_S4_PiS4_S7_S7_d21rocsparse_index_base_imNS_24const_host_device_scalarIfEENS9_IdEENS9_IS5_EEb.kd
    .uniform_work_group_size: 1
    .uses_dynamic_stack: false
    .vgpr_count:     31
    .vgpr_spill_count: 0
    .wavefront_size: 64
  - .args:
      - .offset:         0
        .size:           4
        .value_kind:     by_value
      - .address_space:  global
        .offset:         8
        .size:           8
        .value_kind:     global_buffer
      - .address_space:  global
        .offset:         16
        .size:           8
        .value_kind:     global_buffer
      - .address_space:  global
        .offset:         24
        .size:           8
        .value_kind:     global_buffer
      - .address_space:  global
        .offset:         32
        .size:           8
        .value_kind:     global_buffer
      - .address_space:  global
        .offset:         40
        .size:           8
        .value_kind:     global_buffer
      - .address_space:  global
        .offset:         48
        .size:           8
        .value_kind:     global_buffer
      - .address_space:  global
        .offset:         56
        .size:           8
        .value_kind:     global_buffer
      - .address_space:  global
        .offset:         64
        .size:           8
        .value_kind:     global_buffer
      - .offset:         72
        .size:           8
        .value_kind:     by_value
      - .offset:         80
        .size:           4
        .value_kind:     by_value
      - .offset:         84
        .size:           4
        .value_kind:     by_value
      - .offset:         88
        .size:           8
        .value_kind:     by_value
      - .offset:         96
        .size:           8
        .value_kind:     by_value
      - .offset:         104
        .size:           8
        .value_kind:     by_value
      - .offset:         112
        .size:           8
        .value_kind:     by_value
      - .offset:         120
        .size:           1
        .value_kind:     by_value
    .group_segment_fixed_size: 32768
    .kernarg_segment_align: 8
    .kernarg_segment_size: 124
    .language:       OpenCL C
    .language_version:
      - 2
      - 0
    .max_flat_workgroup_size: 256
    .name:           _ZN9rocsparseL12csrilu0_hashILj256ELj32ELj16E21rocsparse_complex_numIfEEEviPKiS4_PT2_S4_PiS4_S7_S7_d21rocsparse_index_base_imNS_24const_host_device_scalarIfEENS9_IdEENS9_IS5_EEb
    .private_segment_fixed_size: 0
    .sgpr_count:     66
    .sgpr_spill_count: 0
    .symbol:         _ZN9rocsparseL12csrilu0_hashILj256ELj32ELj16E21rocsparse_complex_numIfEEEviPKiS4_PT2_S4_PiS4_S7_S7_d21rocsparse_index_base_imNS_24const_host_device_scalarIfEENS9_IdEENS9_IS5_EEb.kd
    .uniform_work_group_size: 1
    .uses_dynamic_stack: false
    .vgpr_count:     31
    .vgpr_spill_count: 0
    .wavefront_size: 64
  - .args:
      - .offset:         0
        .size:           4
        .value_kind:     by_value
      - .address_space:  global
        .offset:         8
        .size:           8
        .value_kind:     global_buffer
      - .address_space:  global
        .offset:         16
        .size:           8
        .value_kind:     global_buffer
      - .address_space:  global
        .offset:         24
        .size:           8
        .value_kind:     global_buffer
      - .address_space:  global
        .offset:         32
        .size:           8
        .value_kind:     global_buffer
      - .address_space:  global
        .offset:         40
        .size:           8
        .value_kind:     global_buffer
      - .address_space:  global
        .offset:         48
        .size:           8
        .value_kind:     global_buffer
      - .address_space:  global
        .offset:         56
        .size:           8
        .value_kind:     global_buffer
      - .address_space:  global
        .offset:         64
        .size:           8
        .value_kind:     global_buffer
      - .offset:         72
        .size:           8
        .value_kind:     by_value
      - .offset:         80
        .size:           4
        .value_kind:     by_value
      - .offset:         84
        .size:           4
        .value_kind:     by_value
      - .offset:         88
        .size:           8
        .value_kind:     by_value
      - .offset:         96
        .size:           8
        .value_kind:     by_value
      - .offset:         104
        .size:           8
        .value_kind:     by_value
      - .offset:         112
        .size:           8
        .value_kind:     by_value
      - .offset:         120
        .size:           1
        .value_kind:     by_value
    .group_segment_fixed_size: 0
    .kernarg_segment_align: 8
    .kernarg_segment_size: 124
    .language:       OpenCL C
    .language_version:
      - 2
      - 0
    .max_flat_workgroup_size: 256
    .name:           _ZN9rocsparseL17csrilu0_binsearchILj256ELj32ELb0E21rocsparse_complex_numIfEEEviPKiS4_PT2_S4_PiS4_S7_S7_d21rocsparse_index_base_imNS_24const_host_device_scalarIfEENS9_IdEENS9_IS5_EEb
    .private_segment_fixed_size: 0
    .sgpr_count:     42
    .sgpr_spill_count: 0
    .symbol:         _ZN9rocsparseL17csrilu0_binsearchILj256ELj32ELb0E21rocsparse_complex_numIfEEEviPKiS4_PT2_S4_PiS4_S7_S7_d21rocsparse_index_base_imNS_24const_host_device_scalarIfEENS9_IdEENS9_IS5_EEb.kd
    .uniform_work_group_size: 1
    .uses_dynamic_stack: false
    .vgpr_count:     30
    .vgpr_spill_count: 0
    .wavefront_size: 64
  - .args:
      - .offset:         0
        .size:           4
        .value_kind:     by_value
      - .address_space:  global
        .offset:         8
        .size:           8
        .value_kind:     global_buffer
      - .address_space:  global
        .offset:         16
        .size:           8
        .value_kind:     global_buffer
      - .address_space:  global
        .offset:         24
        .size:           8
        .value_kind:     global_buffer
      - .address_space:  global
        .offset:         32
        .size:           8
        .value_kind:     global_buffer
      - .address_space:  global
        .offset:         40
        .size:           8
        .value_kind:     global_buffer
      - .address_space:  global
        .offset:         48
        .size:           8
        .value_kind:     global_buffer
      - .address_space:  global
        .offset:         56
        .size:           8
        .value_kind:     global_buffer
      - .address_space:  global
        .offset:         64
        .size:           8
        .value_kind:     global_buffer
      - .offset:         72
        .size:           8
        .value_kind:     by_value
      - .offset:         80
        .size:           4
        .value_kind:     by_value
      - .offset:         84
        .size:           4
        .value_kind:     by_value
      - .offset:         88
        .size:           8
        .value_kind:     by_value
      - .offset:         96
        .size:           8
        .value_kind:     by_value
      - .offset:         104
        .size:           8
        .value_kind:     by_value
      - .offset:         112
        .size:           8
        .value_kind:     by_value
      - .offset:         120
        .size:           1
        .value_kind:     by_value
    .group_segment_fixed_size: 2048
    .kernarg_segment_align: 8
    .kernarg_segment_size: 124
    .language:       OpenCL C
    .language_version:
      - 2
      - 0
    .max_flat_workgroup_size: 256
    .name:           _ZN9rocsparseL12csrilu0_hashILj256ELj64ELj1E21rocsparse_complex_numIfEEEviPKiS4_PT2_S4_PiS4_S7_S7_d21rocsparse_index_base_imNS_24const_host_device_scalarIfEENS9_IdEENS9_IS5_EEb
    .private_segment_fixed_size: 0
    .sgpr_count:     66
    .sgpr_spill_count: 0
    .symbol:         _ZN9rocsparseL12csrilu0_hashILj256ELj64ELj1E21rocsparse_complex_numIfEEEviPKiS4_PT2_S4_PiS4_S7_S7_d21rocsparse_index_base_imNS_24const_host_device_scalarIfEENS9_IdEENS9_IS5_EEb.kd
    .uniform_work_group_size: 1
    .uses_dynamic_stack: false
    .vgpr_count:     31
    .vgpr_spill_count: 0
    .wavefront_size: 64
  - .args:
      - .offset:         0
        .size:           4
        .value_kind:     by_value
      - .address_space:  global
        .offset:         8
        .size:           8
        .value_kind:     global_buffer
      - .address_space:  global
        .offset:         16
        .size:           8
        .value_kind:     global_buffer
      - .address_space:  global
        .offset:         24
        .size:           8
        .value_kind:     global_buffer
      - .address_space:  global
        .offset:         32
        .size:           8
        .value_kind:     global_buffer
      - .address_space:  global
        .offset:         40
        .size:           8
        .value_kind:     global_buffer
      - .address_space:  global
        .offset:         48
        .size:           8
        .value_kind:     global_buffer
      - .address_space:  global
        .offset:         56
        .size:           8
        .value_kind:     global_buffer
      - .address_space:  global
        .offset:         64
        .size:           8
        .value_kind:     global_buffer
      - .offset:         72
        .size:           8
        .value_kind:     by_value
      - .offset:         80
        .size:           4
        .value_kind:     by_value
      - .offset:         84
        .size:           4
        .value_kind:     by_value
      - .offset:         88
        .size:           8
        .value_kind:     by_value
      - .offset:         96
        .size:           8
        .value_kind:     by_value
      - .offset:         104
        .size:           8
        .value_kind:     by_value
      - .offset:         112
        .size:           8
        .value_kind:     by_value
      - .offset:         120
        .size:           1
        .value_kind:     by_value
    .group_segment_fixed_size: 4096
    .kernarg_segment_align: 8
    .kernarg_segment_size: 124
    .language:       OpenCL C
    .language_version:
      - 2
      - 0
    .max_flat_workgroup_size: 256
    .name:           _ZN9rocsparseL12csrilu0_hashILj256ELj64ELj2E21rocsparse_complex_numIfEEEviPKiS4_PT2_S4_PiS4_S7_S7_d21rocsparse_index_base_imNS_24const_host_device_scalarIfEENS9_IdEENS9_IS5_EEb
    .private_segment_fixed_size: 0
    .sgpr_count:     66
    .sgpr_spill_count: 0
    .symbol:         _ZN9rocsparseL12csrilu0_hashILj256ELj64ELj2E21rocsparse_complex_numIfEEEviPKiS4_PT2_S4_PiS4_S7_S7_d21rocsparse_index_base_imNS_24const_host_device_scalarIfEENS9_IdEENS9_IS5_EEb.kd
    .uniform_work_group_size: 1
    .uses_dynamic_stack: false
    .vgpr_count:     31
    .vgpr_spill_count: 0
    .wavefront_size: 64
  - .args:
      - .offset:         0
        .size:           4
        .value_kind:     by_value
      - .address_space:  global
        .offset:         8
        .size:           8
        .value_kind:     global_buffer
      - .address_space:  global
        .offset:         16
        .size:           8
        .value_kind:     global_buffer
      - .address_space:  global
        .offset:         24
        .size:           8
        .value_kind:     global_buffer
      - .address_space:  global
        .offset:         32
        .size:           8
        .value_kind:     global_buffer
      - .address_space:  global
        .offset:         40
        .size:           8
        .value_kind:     global_buffer
      - .address_space:  global
        .offset:         48
        .size:           8
        .value_kind:     global_buffer
      - .address_space:  global
        .offset:         56
        .size:           8
        .value_kind:     global_buffer
      - .address_space:  global
        .offset:         64
        .size:           8
        .value_kind:     global_buffer
      - .offset:         72
        .size:           8
        .value_kind:     by_value
      - .offset:         80
        .size:           4
        .value_kind:     by_value
      - .offset:         84
        .size:           4
        .value_kind:     by_value
      - .offset:         88
        .size:           8
        .value_kind:     by_value
      - .offset:         96
        .size:           8
        .value_kind:     by_value
      - .offset:         104
        .size:           8
        .value_kind:     by_value
      - .offset:         112
        .size:           8
        .value_kind:     by_value
      - .offset:         120
        .size:           1
        .value_kind:     by_value
    .group_segment_fixed_size: 8192
    .kernarg_segment_align: 8
    .kernarg_segment_size: 124
    .language:       OpenCL C
    .language_version:
      - 2
      - 0
    .max_flat_workgroup_size: 256
    .name:           _ZN9rocsparseL12csrilu0_hashILj256ELj64ELj4E21rocsparse_complex_numIfEEEviPKiS4_PT2_S4_PiS4_S7_S7_d21rocsparse_index_base_imNS_24const_host_device_scalarIfEENS9_IdEENS9_IS5_EEb
    .private_segment_fixed_size: 0
    .sgpr_count:     66
    .sgpr_spill_count: 0
    .symbol:         _ZN9rocsparseL12csrilu0_hashILj256ELj64ELj4E21rocsparse_complex_numIfEEEviPKiS4_PT2_S4_PiS4_S7_S7_d21rocsparse_index_base_imNS_24const_host_device_scalarIfEENS9_IdEENS9_IS5_EEb.kd
    .uniform_work_group_size: 1
    .uses_dynamic_stack: false
    .vgpr_count:     31
    .vgpr_spill_count: 0
    .wavefront_size: 64
  - .args:
      - .offset:         0
        .size:           4
        .value_kind:     by_value
      - .address_space:  global
        .offset:         8
        .size:           8
        .value_kind:     global_buffer
      - .address_space:  global
        .offset:         16
        .size:           8
        .value_kind:     global_buffer
      - .address_space:  global
        .offset:         24
        .size:           8
        .value_kind:     global_buffer
      - .address_space:  global
        .offset:         32
        .size:           8
        .value_kind:     global_buffer
      - .address_space:  global
        .offset:         40
        .size:           8
        .value_kind:     global_buffer
      - .address_space:  global
        .offset:         48
        .size:           8
        .value_kind:     global_buffer
      - .address_space:  global
        .offset:         56
        .size:           8
        .value_kind:     global_buffer
      - .address_space:  global
        .offset:         64
        .size:           8
        .value_kind:     global_buffer
      - .offset:         72
        .size:           8
        .value_kind:     by_value
      - .offset:         80
        .size:           4
        .value_kind:     by_value
      - .offset:         84
        .size:           4
        .value_kind:     by_value
      - .offset:         88
        .size:           8
        .value_kind:     by_value
      - .offset:         96
        .size:           8
        .value_kind:     by_value
      - .offset:         104
        .size:           8
        .value_kind:     by_value
      - .offset:         112
        .size:           8
        .value_kind:     by_value
      - .offset:         120
        .size:           1
        .value_kind:     by_value
    .group_segment_fixed_size: 16384
    .kernarg_segment_align: 8
    .kernarg_segment_size: 124
    .language:       OpenCL C
    .language_version:
      - 2
      - 0
    .max_flat_workgroup_size: 256
    .name:           _ZN9rocsparseL12csrilu0_hashILj256ELj64ELj8E21rocsparse_complex_numIfEEEviPKiS4_PT2_S4_PiS4_S7_S7_d21rocsparse_index_base_imNS_24const_host_device_scalarIfEENS9_IdEENS9_IS5_EEb
    .private_segment_fixed_size: 0
    .sgpr_count:     66
    .sgpr_spill_count: 0
    .symbol:         _ZN9rocsparseL12csrilu0_hashILj256ELj64ELj8E21rocsparse_complex_numIfEEEviPKiS4_PT2_S4_PiS4_S7_S7_d21rocsparse_index_base_imNS_24const_host_device_scalarIfEENS9_IdEENS9_IS5_EEb.kd
    .uniform_work_group_size: 1
    .uses_dynamic_stack: false
    .vgpr_count:     31
    .vgpr_spill_count: 0
    .wavefront_size: 64
  - .args:
      - .offset:         0
        .size:           4
        .value_kind:     by_value
      - .address_space:  global
        .offset:         8
        .size:           8
        .value_kind:     global_buffer
      - .address_space:  global
        .offset:         16
        .size:           8
        .value_kind:     global_buffer
      - .address_space:  global
        .offset:         24
        .size:           8
        .value_kind:     global_buffer
      - .address_space:  global
        .offset:         32
        .size:           8
        .value_kind:     global_buffer
      - .address_space:  global
        .offset:         40
        .size:           8
        .value_kind:     global_buffer
      - .address_space:  global
        .offset:         48
        .size:           8
        .value_kind:     global_buffer
      - .address_space:  global
        .offset:         56
        .size:           8
        .value_kind:     global_buffer
      - .address_space:  global
        .offset:         64
        .size:           8
        .value_kind:     global_buffer
      - .offset:         72
        .size:           8
        .value_kind:     by_value
      - .offset:         80
        .size:           4
        .value_kind:     by_value
      - .offset:         84
        .size:           4
        .value_kind:     by_value
      - .offset:         88
        .size:           8
        .value_kind:     by_value
      - .offset:         96
        .size:           8
        .value_kind:     by_value
      - .offset:         104
        .size:           8
        .value_kind:     by_value
      - .offset:         112
        .size:           8
        .value_kind:     by_value
      - .offset:         120
        .size:           1
        .value_kind:     by_value
    .group_segment_fixed_size: 32768
    .kernarg_segment_align: 8
    .kernarg_segment_size: 124
    .language:       OpenCL C
    .language_version:
      - 2
      - 0
    .max_flat_workgroup_size: 256
    .name:           _ZN9rocsparseL12csrilu0_hashILj256ELj64ELj16E21rocsparse_complex_numIfEEEviPKiS4_PT2_S4_PiS4_S7_S7_d21rocsparse_index_base_imNS_24const_host_device_scalarIfEENS9_IdEENS9_IS5_EEb
    .private_segment_fixed_size: 0
    .sgpr_count:     66
    .sgpr_spill_count: 0
    .symbol:         _ZN9rocsparseL12csrilu0_hashILj256ELj64ELj16E21rocsparse_complex_numIfEEEviPKiS4_PT2_S4_PiS4_S7_S7_d21rocsparse_index_base_imNS_24const_host_device_scalarIfEENS9_IdEENS9_IS5_EEb.kd
    .uniform_work_group_size: 1
    .uses_dynamic_stack: false
    .vgpr_count:     31
    .vgpr_spill_count: 0
    .wavefront_size: 64
  - .args:
      - .offset:         0
        .size:           4
        .value_kind:     by_value
      - .address_space:  global
        .offset:         8
        .size:           8
        .value_kind:     global_buffer
      - .address_space:  global
        .offset:         16
        .size:           8
        .value_kind:     global_buffer
      - .address_space:  global
        .offset:         24
        .size:           8
        .value_kind:     global_buffer
      - .address_space:  global
        .offset:         32
        .size:           8
        .value_kind:     global_buffer
      - .address_space:  global
        .offset:         40
        .size:           8
        .value_kind:     global_buffer
      - .address_space:  global
        .offset:         48
        .size:           8
        .value_kind:     global_buffer
      - .address_space:  global
        .offset:         56
        .size:           8
        .value_kind:     global_buffer
      - .address_space:  global
        .offset:         64
        .size:           8
        .value_kind:     global_buffer
      - .offset:         72
        .size:           8
        .value_kind:     by_value
      - .offset:         80
        .size:           4
        .value_kind:     by_value
      - .offset:         84
        .size:           4
        .value_kind:     by_value
      - .offset:         88
        .size:           8
        .value_kind:     by_value
      - .offset:         96
        .size:           8
        .value_kind:     by_value
      - .offset:         104
        .size:           8
        .value_kind:     by_value
      - .offset:         112
        .size:           8
        .value_kind:     by_value
      - .offset:         120
        .size:           1
        .value_kind:     by_value
    .group_segment_fixed_size: 0
    .kernarg_segment_align: 8
    .kernarg_segment_size: 124
    .language:       OpenCL C
    .language_version:
      - 2
      - 0
    .max_flat_workgroup_size: 256
    .name:           _ZN9rocsparseL17csrilu0_binsearchILj256ELj64ELb0E21rocsparse_complex_numIfEEEviPKiS4_PT2_S4_PiS4_S7_S7_d21rocsparse_index_base_imNS_24const_host_device_scalarIfEENS9_IdEENS9_IS5_EEb
    .private_segment_fixed_size: 0
    .sgpr_count:     42
    .sgpr_spill_count: 0
    .symbol:         _ZN9rocsparseL17csrilu0_binsearchILj256ELj64ELb0E21rocsparse_complex_numIfEEEviPKiS4_PT2_S4_PiS4_S7_S7_d21rocsparse_index_base_imNS_24const_host_device_scalarIfEENS9_IdEENS9_IS5_EEb.kd
    .uniform_work_group_size: 1
    .uses_dynamic_stack: false
    .vgpr_count:     30
    .vgpr_spill_count: 0
    .wavefront_size: 64
  - .args:
      - .offset:         0
        .size:           4
        .value_kind:     by_value
      - .address_space:  global
        .offset:         8
        .size:           8
        .value_kind:     global_buffer
      - .address_space:  global
        .offset:         16
        .size:           8
        .value_kind:     global_buffer
      - .address_space:  global
        .offset:         24
        .size:           8
        .value_kind:     global_buffer
      - .address_space:  global
        .offset:         32
        .size:           8
        .value_kind:     global_buffer
      - .address_space:  global
        .offset:         40
        .size:           8
        .value_kind:     global_buffer
      - .address_space:  global
        .offset:         48
        .size:           8
        .value_kind:     global_buffer
      - .address_space:  global
        .offset:         56
        .size:           8
        .value_kind:     global_buffer
      - .address_space:  global
        .offset:         64
        .size:           8
        .value_kind:     global_buffer
      - .offset:         72
        .size:           8
        .value_kind:     by_value
      - .offset:         80
        .size:           4
        .value_kind:     by_value
      - .offset:         84
        .size:           4
        .value_kind:     by_value
      - .offset:         88
        .size:           8
        .value_kind:     by_value
      - .offset:         96
        .size:           8
        .value_kind:     by_value
      - .offset:         104
        .size:           8
        .value_kind:     by_value
      - .offset:         112
        .size:           16
        .value_kind:     by_value
      - .offset:         128
        .size:           1
        .value_kind:     by_value
    .group_segment_fixed_size: 0
    .kernarg_segment_align: 8
    .kernarg_segment_size: 132
    .language:       OpenCL C
    .language_version:
      - 2
      - 0
    .max_flat_workgroup_size: 256
    .name:           _ZN9rocsparseL17csrilu0_binsearchILj256ELj64ELb1E21rocsparse_complex_numIdEEEviPKiS4_PT2_S4_PiS4_S7_S7_d21rocsparse_index_base_imNS_24const_host_device_scalarIfEENS9_IdEENS9_IS5_EEb
    .private_segment_fixed_size: 16
    .sgpr_count:     50
    .sgpr_spill_count: 0
    .symbol:         _ZN9rocsparseL17csrilu0_binsearchILj256ELj64ELb1E21rocsparse_complex_numIdEEEviPKiS4_PT2_S4_PiS4_S7_S7_d21rocsparse_index_base_imNS_24const_host_device_scalarIfEENS9_IdEENS9_IS5_EEb.kd
    .uniform_work_group_size: 1
    .uses_dynamic_stack: false
    .vgpr_count:     43
    .vgpr_spill_count: 0
    .wavefront_size: 64
  - .args:
      - .offset:         0
        .size:           4
        .value_kind:     by_value
      - .address_space:  global
        .offset:         8
        .size:           8
        .value_kind:     global_buffer
      - .address_space:  global
        .offset:         16
        .size:           8
        .value_kind:     global_buffer
      - .address_space:  global
        .offset:         24
        .size:           8
        .value_kind:     global_buffer
      - .address_space:  global
        .offset:         32
        .size:           8
        .value_kind:     global_buffer
      - .address_space:  global
        .offset:         40
        .size:           8
        .value_kind:     global_buffer
      - .address_space:  global
        .offset:         48
        .size:           8
        .value_kind:     global_buffer
      - .address_space:  global
        .offset:         56
        .size:           8
        .value_kind:     global_buffer
      - .address_space:  global
        .offset:         64
        .size:           8
        .value_kind:     global_buffer
      - .offset:         72
        .size:           8
        .value_kind:     by_value
      - .offset:         80
        .size:           4
        .value_kind:     by_value
      - .offset:         84
        .size:           4
        .value_kind:     by_value
      - .offset:         88
        .size:           8
        .value_kind:     by_value
      - .offset:         96
        .size:           8
        .value_kind:     by_value
      - .offset:         104
        .size:           8
        .value_kind:     by_value
      - .offset:         112
        .size:           16
        .value_kind:     by_value
      - .offset:         128
        .size:           1
        .value_kind:     by_value
    .group_segment_fixed_size: 2048
    .kernarg_segment_align: 8
    .kernarg_segment_size: 132
    .language:       OpenCL C
    .language_version:
      - 2
      - 0
    .max_flat_workgroup_size: 256
    .name:           _ZN9rocsparseL12csrilu0_hashILj256ELj32ELj1E21rocsparse_complex_numIdEEEviPKiS4_PT2_S4_PiS4_S7_S7_d21rocsparse_index_base_imNS_24const_host_device_scalarIfEENS9_IdEENS9_IS5_EEb
    .private_segment_fixed_size: 16
    .sgpr_count:     72
    .sgpr_spill_count: 0
    .symbol:         _ZN9rocsparseL12csrilu0_hashILj256ELj32ELj1E21rocsparse_complex_numIdEEEviPKiS4_PT2_S4_PiS4_S7_S7_d21rocsparse_index_base_imNS_24const_host_device_scalarIfEENS9_IdEENS9_IS5_EEb.kd
    .uniform_work_group_size: 1
    .uses_dynamic_stack: false
    .vgpr_count:     44
    .vgpr_spill_count: 0
    .wavefront_size: 64
  - .args:
      - .offset:         0
        .size:           4
        .value_kind:     by_value
      - .address_space:  global
        .offset:         8
        .size:           8
        .value_kind:     global_buffer
      - .address_space:  global
        .offset:         16
        .size:           8
        .value_kind:     global_buffer
      - .address_space:  global
        .offset:         24
        .size:           8
        .value_kind:     global_buffer
      - .address_space:  global
        .offset:         32
        .size:           8
        .value_kind:     global_buffer
      - .address_space:  global
        .offset:         40
        .size:           8
        .value_kind:     global_buffer
      - .address_space:  global
        .offset:         48
        .size:           8
        .value_kind:     global_buffer
      - .address_space:  global
        .offset:         56
        .size:           8
        .value_kind:     global_buffer
      - .address_space:  global
        .offset:         64
        .size:           8
        .value_kind:     global_buffer
      - .offset:         72
        .size:           8
        .value_kind:     by_value
      - .offset:         80
        .size:           4
        .value_kind:     by_value
      - .offset:         84
        .size:           4
        .value_kind:     by_value
      - .offset:         88
        .size:           8
        .value_kind:     by_value
      - .offset:         96
        .size:           8
        .value_kind:     by_value
      - .offset:         104
        .size:           8
        .value_kind:     by_value
      - .offset:         112
        .size:           16
        .value_kind:     by_value
      - .offset:         128
        .size:           1
        .value_kind:     by_value
    .group_segment_fixed_size: 4096
    .kernarg_segment_align: 8
    .kernarg_segment_size: 132
    .language:       OpenCL C
    .language_version:
      - 2
      - 0
    .max_flat_workgroup_size: 256
    .name:           _ZN9rocsparseL12csrilu0_hashILj256ELj32ELj2E21rocsparse_complex_numIdEEEviPKiS4_PT2_S4_PiS4_S7_S7_d21rocsparse_index_base_imNS_24const_host_device_scalarIfEENS9_IdEENS9_IS5_EEb
    .private_segment_fixed_size: 16
    .sgpr_count:     72
    .sgpr_spill_count: 0
    .symbol:         _ZN9rocsparseL12csrilu0_hashILj256ELj32ELj2E21rocsparse_complex_numIdEEEviPKiS4_PT2_S4_PiS4_S7_S7_d21rocsparse_index_base_imNS_24const_host_device_scalarIfEENS9_IdEENS9_IS5_EEb.kd
    .uniform_work_group_size: 1
    .uses_dynamic_stack: false
    .vgpr_count:     44
    .vgpr_spill_count: 0
    .wavefront_size: 64
  - .args:
      - .offset:         0
        .size:           4
        .value_kind:     by_value
      - .address_space:  global
        .offset:         8
        .size:           8
        .value_kind:     global_buffer
      - .address_space:  global
        .offset:         16
        .size:           8
        .value_kind:     global_buffer
      - .address_space:  global
        .offset:         24
        .size:           8
        .value_kind:     global_buffer
      - .address_space:  global
        .offset:         32
        .size:           8
        .value_kind:     global_buffer
      - .address_space:  global
        .offset:         40
        .size:           8
        .value_kind:     global_buffer
      - .address_space:  global
        .offset:         48
        .size:           8
        .value_kind:     global_buffer
      - .address_space:  global
        .offset:         56
        .size:           8
        .value_kind:     global_buffer
      - .address_space:  global
        .offset:         64
        .size:           8
        .value_kind:     global_buffer
      - .offset:         72
        .size:           8
        .value_kind:     by_value
      - .offset:         80
        .size:           4
        .value_kind:     by_value
      - .offset:         84
        .size:           4
        .value_kind:     by_value
      - .offset:         88
        .size:           8
        .value_kind:     by_value
      - .offset:         96
        .size:           8
        .value_kind:     by_value
      - .offset:         104
        .size:           8
        .value_kind:     by_value
      - .offset:         112
        .size:           16
        .value_kind:     by_value
      - .offset:         128
        .size:           1
        .value_kind:     by_value
    .group_segment_fixed_size: 8192
    .kernarg_segment_align: 8
    .kernarg_segment_size: 132
    .language:       OpenCL C
    .language_version:
      - 2
      - 0
    .max_flat_workgroup_size: 256
    .name:           _ZN9rocsparseL12csrilu0_hashILj256ELj32ELj4E21rocsparse_complex_numIdEEEviPKiS4_PT2_S4_PiS4_S7_S7_d21rocsparse_index_base_imNS_24const_host_device_scalarIfEENS9_IdEENS9_IS5_EEb
    .private_segment_fixed_size: 16
    .sgpr_count:     72
    .sgpr_spill_count: 0
    .symbol:         _ZN9rocsparseL12csrilu0_hashILj256ELj32ELj4E21rocsparse_complex_numIdEEEviPKiS4_PT2_S4_PiS4_S7_S7_d21rocsparse_index_base_imNS_24const_host_device_scalarIfEENS9_IdEENS9_IS5_EEb.kd
    .uniform_work_group_size: 1
    .uses_dynamic_stack: false
    .vgpr_count:     44
    .vgpr_spill_count: 0
    .wavefront_size: 64
  - .args:
      - .offset:         0
        .size:           4
        .value_kind:     by_value
      - .address_space:  global
        .offset:         8
        .size:           8
        .value_kind:     global_buffer
      - .address_space:  global
        .offset:         16
        .size:           8
        .value_kind:     global_buffer
      - .address_space:  global
        .offset:         24
        .size:           8
        .value_kind:     global_buffer
      - .address_space:  global
        .offset:         32
        .size:           8
        .value_kind:     global_buffer
      - .address_space:  global
        .offset:         40
        .size:           8
        .value_kind:     global_buffer
      - .address_space:  global
        .offset:         48
        .size:           8
        .value_kind:     global_buffer
      - .address_space:  global
        .offset:         56
        .size:           8
        .value_kind:     global_buffer
      - .address_space:  global
        .offset:         64
        .size:           8
        .value_kind:     global_buffer
      - .offset:         72
        .size:           8
        .value_kind:     by_value
      - .offset:         80
        .size:           4
        .value_kind:     by_value
      - .offset:         84
        .size:           4
        .value_kind:     by_value
      - .offset:         88
        .size:           8
        .value_kind:     by_value
      - .offset:         96
        .size:           8
        .value_kind:     by_value
      - .offset:         104
        .size:           8
        .value_kind:     by_value
      - .offset:         112
        .size:           16
        .value_kind:     by_value
      - .offset:         128
        .size:           1
        .value_kind:     by_value
    .group_segment_fixed_size: 16384
    .kernarg_segment_align: 8
    .kernarg_segment_size: 132
    .language:       OpenCL C
    .language_version:
      - 2
      - 0
    .max_flat_workgroup_size: 256
    .name:           _ZN9rocsparseL12csrilu0_hashILj256ELj32ELj8E21rocsparse_complex_numIdEEEviPKiS4_PT2_S4_PiS4_S7_S7_d21rocsparse_index_base_imNS_24const_host_device_scalarIfEENS9_IdEENS9_IS5_EEb
    .private_segment_fixed_size: 16
    .sgpr_count:     72
    .sgpr_spill_count: 0
    .symbol:         _ZN9rocsparseL12csrilu0_hashILj256ELj32ELj8E21rocsparse_complex_numIdEEEviPKiS4_PT2_S4_PiS4_S7_S7_d21rocsparse_index_base_imNS_24const_host_device_scalarIfEENS9_IdEENS9_IS5_EEb.kd
    .uniform_work_group_size: 1
    .uses_dynamic_stack: false
    .vgpr_count:     44
    .vgpr_spill_count: 0
    .wavefront_size: 64
  - .args:
      - .offset:         0
        .size:           4
        .value_kind:     by_value
      - .address_space:  global
        .offset:         8
        .size:           8
        .value_kind:     global_buffer
      - .address_space:  global
        .offset:         16
        .size:           8
        .value_kind:     global_buffer
      - .address_space:  global
        .offset:         24
        .size:           8
        .value_kind:     global_buffer
      - .address_space:  global
        .offset:         32
        .size:           8
        .value_kind:     global_buffer
      - .address_space:  global
        .offset:         40
        .size:           8
        .value_kind:     global_buffer
      - .address_space:  global
        .offset:         48
        .size:           8
        .value_kind:     global_buffer
      - .address_space:  global
        .offset:         56
        .size:           8
        .value_kind:     global_buffer
      - .address_space:  global
        .offset:         64
        .size:           8
        .value_kind:     global_buffer
      - .offset:         72
        .size:           8
        .value_kind:     by_value
      - .offset:         80
        .size:           4
        .value_kind:     by_value
      - .offset:         84
        .size:           4
        .value_kind:     by_value
      - .offset:         88
        .size:           8
        .value_kind:     by_value
      - .offset:         96
        .size:           8
        .value_kind:     by_value
      - .offset:         104
        .size:           8
        .value_kind:     by_value
      - .offset:         112
        .size:           16
        .value_kind:     by_value
      - .offset:         128
        .size:           1
        .value_kind:     by_value
    .group_segment_fixed_size: 32768
    .kernarg_segment_align: 8
    .kernarg_segment_size: 132
    .language:       OpenCL C
    .language_version:
      - 2
      - 0
    .max_flat_workgroup_size: 256
    .name:           _ZN9rocsparseL12csrilu0_hashILj256ELj32ELj16E21rocsparse_complex_numIdEEEviPKiS4_PT2_S4_PiS4_S7_S7_d21rocsparse_index_base_imNS_24const_host_device_scalarIfEENS9_IdEENS9_IS5_EEb
    .private_segment_fixed_size: 16
    .sgpr_count:     72
    .sgpr_spill_count: 0
    .symbol:         _ZN9rocsparseL12csrilu0_hashILj256ELj32ELj16E21rocsparse_complex_numIdEEEviPKiS4_PT2_S4_PiS4_S7_S7_d21rocsparse_index_base_imNS_24const_host_device_scalarIfEENS9_IdEENS9_IS5_EEb.kd
    .uniform_work_group_size: 1
    .uses_dynamic_stack: false
    .vgpr_count:     44
    .vgpr_spill_count: 0
    .wavefront_size: 64
  - .args:
      - .offset:         0
        .size:           4
        .value_kind:     by_value
      - .address_space:  global
        .offset:         8
        .size:           8
        .value_kind:     global_buffer
      - .address_space:  global
        .offset:         16
        .size:           8
        .value_kind:     global_buffer
      - .address_space:  global
        .offset:         24
        .size:           8
        .value_kind:     global_buffer
      - .address_space:  global
        .offset:         32
        .size:           8
        .value_kind:     global_buffer
      - .address_space:  global
        .offset:         40
        .size:           8
        .value_kind:     global_buffer
      - .address_space:  global
        .offset:         48
        .size:           8
        .value_kind:     global_buffer
      - .address_space:  global
        .offset:         56
        .size:           8
        .value_kind:     global_buffer
      - .address_space:  global
        .offset:         64
        .size:           8
        .value_kind:     global_buffer
      - .offset:         72
        .size:           8
        .value_kind:     by_value
      - .offset:         80
        .size:           4
        .value_kind:     by_value
      - .offset:         84
        .size:           4
        .value_kind:     by_value
      - .offset:         88
        .size:           8
        .value_kind:     by_value
      - .offset:         96
        .size:           8
        .value_kind:     by_value
      - .offset:         104
        .size:           8
        .value_kind:     by_value
      - .offset:         112
        .size:           16
        .value_kind:     by_value
      - .offset:         128
        .size:           1
        .value_kind:     by_value
    .group_segment_fixed_size: 0
    .kernarg_segment_align: 8
    .kernarg_segment_size: 132
    .language:       OpenCL C
    .language_version:
      - 2
      - 0
    .max_flat_workgroup_size: 256
    .name:           _ZN9rocsparseL17csrilu0_binsearchILj256ELj32ELb0E21rocsparse_complex_numIdEEEviPKiS4_PT2_S4_PiS4_S7_S7_d21rocsparse_index_base_imNS_24const_host_device_scalarIfEENS9_IdEENS9_IS5_EEb
    .private_segment_fixed_size: 16
    .sgpr_count:     50
    .sgpr_spill_count: 0
    .symbol:         _ZN9rocsparseL17csrilu0_binsearchILj256ELj32ELb0E21rocsparse_complex_numIdEEEviPKiS4_PT2_S4_PiS4_S7_S7_d21rocsparse_index_base_imNS_24const_host_device_scalarIfEENS9_IdEENS9_IS5_EEb.kd
    .uniform_work_group_size: 1
    .uses_dynamic_stack: false
    .vgpr_count:     43
    .vgpr_spill_count: 0
    .wavefront_size: 64
  - .args:
      - .offset:         0
        .size:           4
        .value_kind:     by_value
      - .address_space:  global
        .offset:         8
        .size:           8
        .value_kind:     global_buffer
      - .address_space:  global
        .offset:         16
        .size:           8
        .value_kind:     global_buffer
      - .address_space:  global
        .offset:         24
        .size:           8
        .value_kind:     global_buffer
      - .address_space:  global
        .offset:         32
        .size:           8
        .value_kind:     global_buffer
      - .address_space:  global
        .offset:         40
        .size:           8
        .value_kind:     global_buffer
      - .address_space:  global
        .offset:         48
        .size:           8
        .value_kind:     global_buffer
      - .address_space:  global
        .offset:         56
        .size:           8
        .value_kind:     global_buffer
      - .address_space:  global
        .offset:         64
        .size:           8
        .value_kind:     global_buffer
      - .offset:         72
        .size:           8
        .value_kind:     by_value
      - .offset:         80
        .size:           4
        .value_kind:     by_value
      - .offset:         84
        .size:           4
        .value_kind:     by_value
      - .offset:         88
        .size:           8
        .value_kind:     by_value
      - .offset:         96
        .size:           8
        .value_kind:     by_value
      - .offset:         104
        .size:           8
        .value_kind:     by_value
      - .offset:         112
        .size:           16
        .value_kind:     by_value
      - .offset:         128
        .size:           1
        .value_kind:     by_value
    .group_segment_fixed_size: 2048
    .kernarg_segment_align: 8
    .kernarg_segment_size: 132
    .language:       OpenCL C
    .language_version:
      - 2
      - 0
    .max_flat_workgroup_size: 256
    .name:           _ZN9rocsparseL12csrilu0_hashILj256ELj64ELj1E21rocsparse_complex_numIdEEEviPKiS4_PT2_S4_PiS4_S7_S7_d21rocsparse_index_base_imNS_24const_host_device_scalarIfEENS9_IdEENS9_IS5_EEb
    .private_segment_fixed_size: 16
    .sgpr_count:     72
    .sgpr_spill_count: 0
    .symbol:         _ZN9rocsparseL12csrilu0_hashILj256ELj64ELj1E21rocsparse_complex_numIdEEEviPKiS4_PT2_S4_PiS4_S7_S7_d21rocsparse_index_base_imNS_24const_host_device_scalarIfEENS9_IdEENS9_IS5_EEb.kd
    .uniform_work_group_size: 1
    .uses_dynamic_stack: false
    .vgpr_count:     44
    .vgpr_spill_count: 0
    .wavefront_size: 64
  - .args:
      - .offset:         0
        .size:           4
        .value_kind:     by_value
      - .address_space:  global
        .offset:         8
        .size:           8
        .value_kind:     global_buffer
      - .address_space:  global
        .offset:         16
        .size:           8
        .value_kind:     global_buffer
      - .address_space:  global
        .offset:         24
        .size:           8
        .value_kind:     global_buffer
      - .address_space:  global
        .offset:         32
        .size:           8
        .value_kind:     global_buffer
      - .address_space:  global
        .offset:         40
        .size:           8
        .value_kind:     global_buffer
      - .address_space:  global
        .offset:         48
        .size:           8
        .value_kind:     global_buffer
      - .address_space:  global
        .offset:         56
        .size:           8
        .value_kind:     global_buffer
      - .address_space:  global
        .offset:         64
        .size:           8
        .value_kind:     global_buffer
      - .offset:         72
        .size:           8
        .value_kind:     by_value
      - .offset:         80
        .size:           4
        .value_kind:     by_value
      - .offset:         84
        .size:           4
        .value_kind:     by_value
      - .offset:         88
        .size:           8
        .value_kind:     by_value
      - .offset:         96
        .size:           8
        .value_kind:     by_value
      - .offset:         104
        .size:           8
        .value_kind:     by_value
      - .offset:         112
        .size:           16
        .value_kind:     by_value
      - .offset:         128
        .size:           1
        .value_kind:     by_value
    .group_segment_fixed_size: 4096
    .kernarg_segment_align: 8
    .kernarg_segment_size: 132
    .language:       OpenCL C
    .language_version:
      - 2
      - 0
    .max_flat_workgroup_size: 256
    .name:           _ZN9rocsparseL12csrilu0_hashILj256ELj64ELj2E21rocsparse_complex_numIdEEEviPKiS4_PT2_S4_PiS4_S7_S7_d21rocsparse_index_base_imNS_24const_host_device_scalarIfEENS9_IdEENS9_IS5_EEb
    .private_segment_fixed_size: 16
    .sgpr_count:     72
    .sgpr_spill_count: 0
    .symbol:         _ZN9rocsparseL12csrilu0_hashILj256ELj64ELj2E21rocsparse_complex_numIdEEEviPKiS4_PT2_S4_PiS4_S7_S7_d21rocsparse_index_base_imNS_24const_host_device_scalarIfEENS9_IdEENS9_IS5_EEb.kd
    .uniform_work_group_size: 1
    .uses_dynamic_stack: false
    .vgpr_count:     44
    .vgpr_spill_count: 0
    .wavefront_size: 64
  - .args:
      - .offset:         0
        .size:           4
        .value_kind:     by_value
      - .address_space:  global
        .offset:         8
        .size:           8
        .value_kind:     global_buffer
      - .address_space:  global
        .offset:         16
        .size:           8
        .value_kind:     global_buffer
      - .address_space:  global
        .offset:         24
        .size:           8
        .value_kind:     global_buffer
      - .address_space:  global
        .offset:         32
        .size:           8
        .value_kind:     global_buffer
      - .address_space:  global
        .offset:         40
        .size:           8
        .value_kind:     global_buffer
      - .address_space:  global
        .offset:         48
        .size:           8
        .value_kind:     global_buffer
      - .address_space:  global
        .offset:         56
        .size:           8
        .value_kind:     global_buffer
      - .address_space:  global
        .offset:         64
        .size:           8
        .value_kind:     global_buffer
      - .offset:         72
        .size:           8
        .value_kind:     by_value
      - .offset:         80
        .size:           4
        .value_kind:     by_value
      - .offset:         84
        .size:           4
        .value_kind:     by_value
      - .offset:         88
        .size:           8
        .value_kind:     by_value
      - .offset:         96
        .size:           8
        .value_kind:     by_value
      - .offset:         104
        .size:           8
        .value_kind:     by_value
      - .offset:         112
        .size:           16
        .value_kind:     by_value
      - .offset:         128
        .size:           1
        .value_kind:     by_value
    .group_segment_fixed_size: 8192
    .kernarg_segment_align: 8
    .kernarg_segment_size: 132
    .language:       OpenCL C
    .language_version:
      - 2
      - 0
    .max_flat_workgroup_size: 256
    .name:           _ZN9rocsparseL12csrilu0_hashILj256ELj64ELj4E21rocsparse_complex_numIdEEEviPKiS4_PT2_S4_PiS4_S7_S7_d21rocsparse_index_base_imNS_24const_host_device_scalarIfEENS9_IdEENS9_IS5_EEb
    .private_segment_fixed_size: 16
    .sgpr_count:     72
    .sgpr_spill_count: 0
    .symbol:         _ZN9rocsparseL12csrilu0_hashILj256ELj64ELj4E21rocsparse_complex_numIdEEEviPKiS4_PT2_S4_PiS4_S7_S7_d21rocsparse_index_base_imNS_24const_host_device_scalarIfEENS9_IdEENS9_IS5_EEb.kd
    .uniform_work_group_size: 1
    .uses_dynamic_stack: false
    .vgpr_count:     44
    .vgpr_spill_count: 0
    .wavefront_size: 64
  - .args:
      - .offset:         0
        .size:           4
        .value_kind:     by_value
      - .address_space:  global
        .offset:         8
        .size:           8
        .value_kind:     global_buffer
      - .address_space:  global
        .offset:         16
        .size:           8
        .value_kind:     global_buffer
      - .address_space:  global
        .offset:         24
        .size:           8
        .value_kind:     global_buffer
      - .address_space:  global
        .offset:         32
        .size:           8
        .value_kind:     global_buffer
      - .address_space:  global
        .offset:         40
        .size:           8
        .value_kind:     global_buffer
      - .address_space:  global
        .offset:         48
        .size:           8
        .value_kind:     global_buffer
      - .address_space:  global
        .offset:         56
        .size:           8
        .value_kind:     global_buffer
      - .address_space:  global
        .offset:         64
        .size:           8
        .value_kind:     global_buffer
      - .offset:         72
        .size:           8
        .value_kind:     by_value
      - .offset:         80
        .size:           4
        .value_kind:     by_value
      - .offset:         84
        .size:           4
        .value_kind:     by_value
      - .offset:         88
        .size:           8
        .value_kind:     by_value
      - .offset:         96
        .size:           8
        .value_kind:     by_value
      - .offset:         104
        .size:           8
        .value_kind:     by_value
      - .offset:         112
        .size:           16
        .value_kind:     by_value
      - .offset:         128
        .size:           1
        .value_kind:     by_value
    .group_segment_fixed_size: 16384
    .kernarg_segment_align: 8
    .kernarg_segment_size: 132
    .language:       OpenCL C
    .language_version:
      - 2
      - 0
    .max_flat_workgroup_size: 256
    .name:           _ZN9rocsparseL12csrilu0_hashILj256ELj64ELj8E21rocsparse_complex_numIdEEEviPKiS4_PT2_S4_PiS4_S7_S7_d21rocsparse_index_base_imNS_24const_host_device_scalarIfEENS9_IdEENS9_IS5_EEb
    .private_segment_fixed_size: 16
    .sgpr_count:     72
    .sgpr_spill_count: 0
    .symbol:         _ZN9rocsparseL12csrilu0_hashILj256ELj64ELj8E21rocsparse_complex_numIdEEEviPKiS4_PT2_S4_PiS4_S7_S7_d21rocsparse_index_base_imNS_24const_host_device_scalarIfEENS9_IdEENS9_IS5_EEb.kd
    .uniform_work_group_size: 1
    .uses_dynamic_stack: false
    .vgpr_count:     44
    .vgpr_spill_count: 0
    .wavefront_size: 64
  - .args:
      - .offset:         0
        .size:           4
        .value_kind:     by_value
      - .address_space:  global
        .offset:         8
        .size:           8
        .value_kind:     global_buffer
      - .address_space:  global
        .offset:         16
        .size:           8
        .value_kind:     global_buffer
      - .address_space:  global
        .offset:         24
        .size:           8
        .value_kind:     global_buffer
      - .address_space:  global
        .offset:         32
        .size:           8
        .value_kind:     global_buffer
      - .address_space:  global
        .offset:         40
        .size:           8
        .value_kind:     global_buffer
      - .address_space:  global
        .offset:         48
        .size:           8
        .value_kind:     global_buffer
      - .address_space:  global
        .offset:         56
        .size:           8
        .value_kind:     global_buffer
      - .address_space:  global
        .offset:         64
        .size:           8
        .value_kind:     global_buffer
      - .offset:         72
        .size:           8
        .value_kind:     by_value
      - .offset:         80
        .size:           4
        .value_kind:     by_value
      - .offset:         84
        .size:           4
        .value_kind:     by_value
      - .offset:         88
        .size:           8
        .value_kind:     by_value
      - .offset:         96
        .size:           8
        .value_kind:     by_value
      - .offset:         104
        .size:           8
        .value_kind:     by_value
      - .offset:         112
        .size:           16
        .value_kind:     by_value
      - .offset:         128
        .size:           1
        .value_kind:     by_value
    .group_segment_fixed_size: 32768
    .kernarg_segment_align: 8
    .kernarg_segment_size: 132
    .language:       OpenCL C
    .language_version:
      - 2
      - 0
    .max_flat_workgroup_size: 256
    .name:           _ZN9rocsparseL12csrilu0_hashILj256ELj64ELj16E21rocsparse_complex_numIdEEEviPKiS4_PT2_S4_PiS4_S7_S7_d21rocsparse_index_base_imNS_24const_host_device_scalarIfEENS9_IdEENS9_IS5_EEb
    .private_segment_fixed_size: 16
    .sgpr_count:     72
    .sgpr_spill_count: 0
    .symbol:         _ZN9rocsparseL12csrilu0_hashILj256ELj64ELj16E21rocsparse_complex_numIdEEEviPKiS4_PT2_S4_PiS4_S7_S7_d21rocsparse_index_base_imNS_24const_host_device_scalarIfEENS9_IdEENS9_IS5_EEb.kd
    .uniform_work_group_size: 1
    .uses_dynamic_stack: false
    .vgpr_count:     44
    .vgpr_spill_count: 0
    .wavefront_size: 64
  - .args:
      - .offset:         0
        .size:           4
        .value_kind:     by_value
      - .address_space:  global
        .offset:         8
        .size:           8
        .value_kind:     global_buffer
      - .address_space:  global
        .offset:         16
        .size:           8
        .value_kind:     global_buffer
      - .address_space:  global
        .offset:         24
        .size:           8
        .value_kind:     global_buffer
      - .address_space:  global
        .offset:         32
        .size:           8
        .value_kind:     global_buffer
      - .address_space:  global
        .offset:         40
        .size:           8
        .value_kind:     global_buffer
      - .address_space:  global
        .offset:         48
        .size:           8
        .value_kind:     global_buffer
      - .address_space:  global
        .offset:         56
        .size:           8
        .value_kind:     global_buffer
      - .address_space:  global
        .offset:         64
        .size:           8
        .value_kind:     global_buffer
      - .offset:         72
        .size:           8
        .value_kind:     by_value
      - .offset:         80
        .size:           4
        .value_kind:     by_value
      - .offset:         84
        .size:           4
        .value_kind:     by_value
      - .offset:         88
        .size:           8
        .value_kind:     by_value
      - .offset:         96
        .size:           8
        .value_kind:     by_value
      - .offset:         104
        .size:           8
        .value_kind:     by_value
      - .offset:         112
        .size:           16
        .value_kind:     by_value
      - .offset:         128
        .size:           1
        .value_kind:     by_value
    .group_segment_fixed_size: 0
    .kernarg_segment_align: 8
    .kernarg_segment_size: 132
    .language:       OpenCL C
    .language_version:
      - 2
      - 0
    .max_flat_workgroup_size: 256
    .name:           _ZN9rocsparseL17csrilu0_binsearchILj256ELj64ELb0E21rocsparse_complex_numIdEEEviPKiS4_PT2_S4_PiS4_S7_S7_d21rocsparse_index_base_imNS_24const_host_device_scalarIfEENS9_IdEENS9_IS5_EEb
    .private_segment_fixed_size: 16
    .sgpr_count:     50
    .sgpr_spill_count: 0
    .symbol:         _ZN9rocsparseL17csrilu0_binsearchILj256ELj64ELb0E21rocsparse_complex_numIdEEEviPKiS4_PT2_S4_PiS4_S7_S7_d21rocsparse_index_base_imNS_24const_host_device_scalarIfEENS9_IdEENS9_IS5_EEb.kd
    .uniform_work_group_size: 1
    .uses_dynamic_stack: false
    .vgpr_count:     43
    .vgpr_spill_count: 0
    .wavefront_size: 64
amdhsa.target:   amdgcn-amd-amdhsa--gfx906
amdhsa.version:
  - 1
  - 2
...

	.end_amdgpu_metadata
